;; amdgpu-corpus repo=ROCm/rocFFT kind=compiled arch=gfx906 opt=O3
	.text
	.amdgcn_target "amdgcn-amd-amdhsa--gfx906"
	.amdhsa_code_object_version 6
	.protected	bluestein_single_back_len1287_dim1_sp_op_CI_CI ; -- Begin function bluestein_single_back_len1287_dim1_sp_op_CI_CI
	.globl	bluestein_single_back_len1287_dim1_sp_op_CI_CI
	.p2align	8
	.type	bluestein_single_back_len1287_dim1_sp_op_CI_CI,@function
bluestein_single_back_len1287_dim1_sp_op_CI_CI: ; @bluestein_single_back_len1287_dim1_sp_op_CI_CI
; %bb.0:
	s_load_dwordx4 s[12:15], s[4:5], 0x28
	v_mul_u32_u24_e32 v1, 0x231, v0
	v_add_u32_sdwa v101, s6, v1 dst_sel:DWORD dst_unused:UNUSED_PAD src0_sel:DWORD src1_sel:WORD_1
	v_mov_b32_e32 v102, 0
	s_waitcnt lgkmcnt(0)
	v_cmp_gt_u64_e32 vcc, s[12:13], v[101:102]
	s_and_saveexec_b64 s[0:1], vcc
	s_cbranch_execz .LBB0_31
; %bb.1:
	s_load_dwordx4 s[0:3], s[4:5], 0x18
	s_load_dwordx2 s[16:17], s[4:5], 0x0
	s_waitcnt lgkmcnt(0)
	s_load_dwordx4 s[8:11], s[0:1], 0x0
	s_movk_i32 s0, 0x75
	v_mul_lo_u16_sdwa v1, v1, s0 dst_sel:DWORD dst_unused:UNUSED_PAD src0_sel:WORD_1 src1_sel:DWORD
	v_sub_u16_e32 v117, v0, v1
	v_lshlrev_b32_e32 v116, 3, v117
	s_waitcnt lgkmcnt(0)
	v_mad_u64_u32 v[0:1], s[0:1], s10, v101, 0
	v_mad_u64_u32 v[2:3], s[0:1], s8, v117, 0
	v_add_co_u32_e64 v89, s[6:7], s16, v116
	v_mad_u64_u32 v[4:5], s[0:1], s11, v101, v[1:2]
	global_load_dwordx2 v[106:107], v116, s[16:17] offset:3432
	v_mad_u64_u32 v[5:6], s[0:1], s9, v117, v[3:4]
	v_mov_b32_e32 v1, v4
	v_lshlrev_b64 v[0:1], 3, v[0:1]
	v_mov_b32_e32 v6, s15
	v_mov_b32_e32 v3, v5
	v_add_co_u32_e32 v4, vcc, s14, v0
	v_addc_co_u32_e32 v5, vcc, v6, v1, vcc
	v_lshlrev_b64 v[0:1], 3, v[2:3]
	s_mul_i32 s0, s9, 0x1ad
	s_mul_hi_u32 s1, s8, 0x1ad
	v_add_co_u32_e32 v0, vcc, v4, v0
	v_mov_b32_e32 v2, s17
	s_add_i32 s1, s1, s0
	s_mul_i32 s0, s8, 0x1ad
	v_addc_co_u32_e32 v1, vcc, v5, v1, vcc
	v_addc_co_u32_e64 v90, vcc, 0, v2, s[6:7]
	s_lshl_b64 s[14:15], s[0:1], 3
	v_mov_b32_e32 v20, s15
	v_add_co_u32_e32 v2, vcc, s14, v0
	v_addc_co_u32_e32 v3, vcc, v1, v20, vcc
	v_add_co_u32_e32 v4, vcc, s14, v2
	v_addc_co_u32_e32 v5, vcc, v3, v20, vcc
	s_movk_i32 s0, 0x1000
	s_mul_hi_u32 s1, s8, 0xfffffd1b
	global_load_dwordx2 v[6:7], v[0:1], off
	global_load_dwordx2 v[8:9], v[2:3], off
	;; [unrolled: 1-line block ×3, first 2 shown]
	v_add_co_u32_e32 v0, vcc, s0, v89
	s_mul_i32 s0, s9, 0xfffffd1b
	s_sub_i32 s1, s1, s8
	s_add_i32 s1, s1, s0
	s_mul_i32 s0, s8, 0xfffffd1b
	v_addc_co_u32_e32 v1, vcc, 0, v90, vcc
	s_lshl_b64 s[18:19], s[0:1], 3
	v_mov_b32_e32 v16, s19
	v_add_co_u32_e32 v2, vcc, s18, v4
	v_addc_co_u32_e32 v3, vcc, v5, v16, vcc
	v_add_co_u32_e32 v4, vcc, s14, v2
	v_addc_co_u32_e32 v5, vcc, v3, v20, vcc
	global_load_dwordx2 v[102:103], v[0:1], off offset:2768
	global_load_dwordx2 v[108:109], v116, s[16:17]
	global_load_dwordx2 v[104:105], v116, s[16:17] offset:936
	global_load_dwordx2 v[12:13], v[2:3], off
	global_load_dwordx2 v[14:15], v[4:5], off
	global_load_dwordx2 v[99:100], v[0:1], off offset:272
	v_add_co_u32_e32 v2, vcc, s14, v4
	v_addc_co_u32_e32 v3, vcc, v5, v20, vcc
	global_load_dwordx2 v[4:5], v[2:3], off
	global_load_dwordx2 v[97:98], v[0:1], off offset:3704
	v_add_co_u32_e32 v2, vcc, s18, v2
	v_addc_co_u32_e32 v3, vcc, v3, v16, vcc
	global_load_dwordx2 v[16:17], v[2:3], off
	global_load_dwordx2 v[95:96], v116, s[16:17] offset:1872
	v_add_co_u32_e32 v2, vcc, s14, v2
	v_addc_co_u32_e32 v3, vcc, v3, v20, vcc
	global_load_dwordx2 v[18:19], v[2:3], off
	global_load_dwordx2 v[93:94], v[0:1], off offset:1208
	v_add_co_u32_e32 v2, vcc, s14, v2
	v_addc_co_u32_e32 v3, vcc, v3, v20, vcc
	s_movk_i32 s0, 0x2000
	v_add_co_u32_e32 v22, vcc, s0, v89
	v_addc_co_u32_e32 v23, vcc, 0, v90, vcc
	global_load_dwordx2 v[20:21], v[2:3], off
	global_load_dwordx2 v[91:92], v[22:23], off offset:544
	s_load_dwordx2 s[12:13], s[4:5], 0x38
	s_load_dwordx4 s[8:11], s[2:3], 0x0
	s_movk_i32 s0, 0x4e
	v_cmp_gt_u16_e64 s[0:1], s0, v117
	s_waitcnt vmcnt(12)
	v_mul_f32_e32 v22, v7, v109
	v_fmac_f32_e32 v22, v6, v108
	v_mul_f32_e32 v6, v6, v109
	v_fma_f32 v23, v7, v108, -v6
	v_mul_f32_e32 v6, v9, v107
	v_mul_f32_e32 v7, v8, v107
	v_fmac_f32_e32 v6, v8, v106
	v_fma_f32 v7, v9, v106, -v7
	ds_write_b64 v116, v[6:7] offset:3432
	v_mul_f32_e32 v6, v11, v103
	v_mul_f32_e32 v7, v10, v103
	s_waitcnt vmcnt(6)
	v_mul_f32_e32 v9, v5, v98
	v_fmac_f32_e32 v6, v10, v102
	v_fma_f32 v7, v11, v102, -v7
	v_fmac_f32_e32 v9, v4, v97
	v_mul_f32_e32 v4, v4, v98
	ds_write_b64 v116, v[6:7] offset:6864
	v_mul_f32_e32 v6, v13, v105
	v_mul_f32_e32 v7, v12, v105
	v_fma_f32 v10, v5, v97, -v4
	s_waitcnt vmcnt(4)
	v_mul_f32_e32 v4, v17, v96
	v_mul_f32_e32 v5, v16, v96
	v_fmac_f32_e32 v6, v12, v104
	v_fma_f32 v7, v13, v104, -v7
	v_fmac_f32_e32 v4, v16, v95
	v_fma_f32 v5, v17, v95, -v5
	ds_write2_b64 v116, v[22:23], v[6:7] offset1:117
	v_mul_f32_e32 v6, v15, v100
	v_mul_f32_e32 v7, v14, v100
	ds_write_b64 v116, v[4:5] offset:1872
	s_waitcnt vmcnt(2)
	v_mul_f32_e32 v4, v19, v94
	v_mul_f32_e32 v5, v18, v94
	v_fmac_f32_e32 v6, v14, v99
	v_fma_f32 v7, v15, v99, -v7
	v_fmac_f32_e32 v4, v18, v93
	v_fma_f32 v5, v19, v93, -v5
	v_add_u32_e32 v8, 0x1000, v116
	ds_write2_b64 v8, v[6:7], v[4:5] offset0:34 offset1:151
	s_waitcnt vmcnt(0)
	v_mul_f32_e32 v4, v21, v92
	v_mul_f32_e32 v5, v20, v92
	v_fmac_f32_e32 v4, v20, v91
	v_fma_f32 v5, v21, v91, -v5
	v_add_u32_e32 v6, 0x1c00, v116
	ds_write2_b64 v6, v[9:10], v[4:5] offset0:79 offset1:196
	s_and_saveexec_b64 s[2:3], s[0:1]
	s_cbranch_execz .LBB0_3
; %bb.2:
	v_mov_b32_e32 v4, s19
	v_add_co_u32_e32 v2, vcc, s18, v2
	v_addc_co_u32_e32 v3, vcc, v3, v4, vcc
	global_load_dwordx2 v[4:5], v[2:3], off
	v_mov_b32_e32 v13, s15
	v_add_co_u32_e32 v2, vcc, s14, v2
	v_addc_co_u32_e32 v3, vcc, v3, v13, vcc
	global_load_dwordx2 v[6:7], v[2:3], off
	global_load_dwordx2 v[9:10], v[89:90], off offset:2808
	global_load_dwordx2 v[11:12], v[0:1], off offset:2144
	v_add_co_u32_e32 v0, vcc, s14, v2
	v_addc_co_u32_e32 v1, vcc, v3, v13, vcc
	v_add_co_u32_e32 v2, vcc, 0x2000, v89
	v_addc_co_u32_e32 v3, vcc, 0, v90, vcc
	global_load_dwordx2 v[13:14], v[2:3], off offset:1480
	global_load_dwordx2 v[15:16], v[0:1], off
	s_waitcnt vmcnt(3)
	v_mul_f32_e32 v0, v5, v10
	v_mul_f32_e32 v1, v4, v10
	v_fmac_f32_e32 v0, v4, v9
	v_fma_f32 v1, v5, v9, -v1
	s_waitcnt vmcnt(2)
	v_mul_f32_e32 v2, v7, v12
	v_mul_f32_e32 v3, v6, v12
	ds_write_b64 v116, v[0:1] offset:2808
	v_fmac_f32_e32 v2, v6, v11
	v_fma_f32 v3, v7, v11, -v3
	ds_write_b64 v116, v[2:3] offset:6240
	s_waitcnt vmcnt(0)
	v_mul_f32_e32 v0, v16, v14
	v_mul_f32_e32 v1, v15, v14
	v_fmac_f32_e32 v0, v15, v13
	v_fma_f32 v1, v16, v13, -v1
	ds_write_b64 v116, v[0:1] offset:9672
.LBB0_3:
	s_or_b64 exec, exec, s[2:3]
	v_add_u32_e32 v0, 0x600, v116
	s_waitcnt lgkmcnt(0)
	s_barrier
	ds_read2_b64 v[32:35], v0 offset0:42 offset1:237
	v_add_u32_e32 v0, 0x1800, v116
	ds_read2_b64 v[28:31], v116 offset1:117
	ds_read2_b64 v[4:7], v0 offset0:90 offset1:207
	ds_read2_b64 v[0:3], v8 offset0:34 offset1:151
	ds_read_b64 v[12:13], v116 offset:8736
                                        ; implicit-def: $vgpr38
                                        ; implicit-def: $vgpr8
                                        ; implicit-def: $vgpr10
	s_and_saveexec_b64 s[2:3], s[0:1]
	s_cbranch_execz .LBB0_5
; %bb.4:
	ds_read_b64 v[38:39], v116 offset:2808
	ds_read_b64 v[8:9], v116 offset:6240
	;; [unrolled: 1-line block ×3, first 2 shown]
.LBB0_5:
	s_or_b64 exec, exec, s[2:3]
	s_waitcnt lgkmcnt(3)
	v_add_f32_e32 v14, v28, v34
	s_waitcnt lgkmcnt(2)
	v_add_f32_e32 v24, v14, v4
	v_add_f32_e32 v14, v34, v4
	v_fma_f32 v40, -0.5, v14, v28
	v_sub_f32_e32 v14, v35, v5
	v_mov_b32_e32 v26, v40
	v_fmac_f32_e32 v26, 0x3f5db3d7, v14
	v_fmac_f32_e32 v40, 0xbf5db3d7, v14
	v_add_f32_e32 v14, v29, v35
	v_add_f32_e32 v25, v14, v5
	;; [unrolled: 1-line block ×3, first 2 shown]
	v_fma_f32 v41, -0.5, v5, v29
	v_sub_f32_e32 v4, v34, v4
	v_mov_b32_e32 v27, v41
	v_fmac_f32_e32 v27, 0xbf5db3d7, v4
	v_fmac_f32_e32 v41, 0x3f5db3d7, v4
	s_waitcnt lgkmcnt(1)
	v_add_f32_e32 v4, v30, v0
	v_add_f32_e32 v34, v4, v6
	;; [unrolled: 1-line block ×3, first 2 shown]
	v_fma_f32 v30, -0.5, v4, v30
	v_sub_f32_e32 v4, v1, v7
	v_mov_b32_e32 v28, v30
	v_fmac_f32_e32 v28, 0x3f5db3d7, v4
	v_fmac_f32_e32 v30, 0xbf5db3d7, v4
	v_add_f32_e32 v4, v31, v1
	v_add_f32_e32 v1, v1, v7
	v_fmac_f32_e32 v31, -0.5, v1
	v_sub_f32_e32 v0, v0, v6
	v_mov_b32_e32 v29, v31
	v_fmac_f32_e32 v29, 0xbf5db3d7, v0
	v_fmac_f32_e32 v31, 0x3f5db3d7, v0
	v_add_f32_e32 v0, v32, v2
	s_waitcnt lgkmcnt(0)
	v_add_f32_e32 v44, v0, v12
	v_add_f32_e32 v0, v2, v12
	v_fma_f32 v32, -0.5, v0, v32
	v_sub_f32_e32 v0, v3, v13
	v_mov_b32_e32 v46, v32
	v_fmac_f32_e32 v46, 0x3f5db3d7, v0
	v_fmac_f32_e32 v32, 0xbf5db3d7, v0
	v_add_f32_e32 v0, v33, v3
	v_add_f32_e32 v45, v0, v13
	v_add_f32_e32 v0, v3, v13
	v_fmac_f32_e32 v33, -0.5, v0
	v_sub_f32_e32 v0, v2, v12
	v_mov_b32_e32 v47, v33
	v_fmac_f32_e32 v47, 0xbf5db3d7, v0
	v_fmac_f32_e32 v33, 0x3f5db3d7, v0
	v_add_f32_e32 v0, v38, v8
	v_add_f32_e32 v48, v0, v10
	v_add_f32_e32 v0, v8, v10
	v_fmac_f32_e32 v38, -0.5, v0
	;; [unrolled: 8-line block ×3, first 2 shown]
	s_load_dwordx2 s[4:5], s[4:5], 0x8
	v_sub_f32_e32 v0, v8, v10
	v_mov_b32_e32 v37, v39
	v_add_co_u32_e32 v64, vcc, 0x75, v117
	v_fmac_f32_e32 v37, 0xbf5db3d7, v0
	v_fmac_f32_e32 v39, 0x3f5db3d7, v0
	v_mul_lo_u16_e32 v0, 3, v117
	v_add_co_u32_e32 v66, vcc, 0xea, v117
	v_lshlrev_b32_e32 v120, 3, v0
	v_mul_u32_u24_e32 v0, 3, v64
	v_add_co_u32_e32 v65, vcc, 0x15f, v117
	v_lshlrev_b32_e32 v121, 3, v0
	v_mul_u32_u24_e32 v0, 3, v66
	v_add_f32_e32 v35, v4, v7
	v_lshlrev_b32_e32 v122, 3, v0
	v_mul_u32_u24_e32 v123, 3, v65
	s_waitcnt lgkmcnt(0)
	s_barrier
	ds_write2_b64 v120, v[24:25], v[26:27] offset1:1
	ds_write_b64 v120, v[40:41] offset:16
	ds_write2_b64 v121, v[34:35], v[28:29] offset1:1
	ds_write_b64 v121, v[30:31] offset:16
	;; [unrolled: 2-line block ×3, first 2 shown]
	s_and_saveexec_b64 s[2:3], s[0:1]
	s_cbranch_execz .LBB0_7
; %bb.6:
	v_lshlrev_b32_e32 v0, 3, v123
	ds_write2_b64 v0, v[48:49], v[36:37] offset1:1
	ds_write_b64 v0, v[38:39] offset:16
.LBB0_7:
	s_or_b64 exec, exec, s[2:3]
	s_movk_i32 s2, 0x63
	v_cmp_gt_u16_e64 s[2:3], s2, v117
	s_waitcnt lgkmcnt(0)
	s_barrier
	s_waitcnt lgkmcnt(0)
                                        ; implicit-def: $vgpr50
	s_and_saveexec_b64 s[14:15], s[2:3]
	s_cbranch_execz .LBB0_9
; %bb.8:
	v_add_u32_e32 v0, 0x400, v116
	v_add_u32_e32 v1, 0x1800, v116
	ds_read2_b64 v[40:43], v0 offset0:70 offset1:169
	v_add_u32_e32 v0, 0x800, v116
	ds_read2_b64 v[32:35], v1 offset0:24 offset1:123
	v_add_u32_e32 v1, 0x1c00, v116
	ds_read2_b64 v[24:27], v116 offset1:99
	ds_read2_b64 v[28:31], v0 offset0:140 offset1:239
	v_add_u32_e32 v0, 0x1000, v116
	ds_read2_b64 v[36:39], v1 offset0:94 offset1:193
	ds_read2_b64 v[44:47], v0 offset0:82 offset1:181
	ds_read_b64 v[50:51], v116 offset:9504
	s_waitcnt lgkmcnt(5)
	v_mov_b32_e32 v48, v34
	v_mov_b32_e32 v49, v35
	;; [unrolled: 1-line block ×4, first 2 shown]
.LBB0_9:
	s_or_b64 exec, exec, s[14:15]
	s_movk_i32 s14, 0xab
	v_mul_lo_u16_sdwa v0, v117, s14 dst_sel:DWORD dst_unused:UNUSED_PAD src0_sel:BYTE_0 src1_sel:DWORD
	v_lshrrev_b16_e32 v119, 9, v0
	v_mul_lo_u16_e32 v0, 3, v119
	v_sub_u16_e32 v0, v117, v0
	v_and_b32_e32 v118, 0xff, v0
	v_mul_u32_u24_e32 v0, 12, v118
	v_lshlrev_b32_e32 v42, 3, v0
	global_load_dwordx4 v[16:19], v42, s[4:5]
	global_load_dwordx4 v[8:11], v42, s[4:5] offset:16
	global_load_dwordx4 v[4:7], v42, s[4:5] offset:32
	;; [unrolled: 1-line block ×5, first 2 shown]
	s_mov_b32 s16, 0x3f62ad3f
	s_mov_b32 s18, 0x3f116cb1
	;; [unrolled: 1-line block ×6, first 2 shown]
	v_mul_u32_u24_e32 v119, 39, v119
	s_waitcnt vmcnt(0) lgkmcnt(0)
	s_barrier
	v_mul_f32_e32 v42, v26, v17
	v_mul_f32_e32 v43, v40, v19
	v_fmac_f32_e32 v42, v27, v16
	v_mul_f32_e32 v56, v27, v17
	v_mul_f32_e32 v52, v34, v9
	;; [unrolled: 1-line block ×4, first 2 shown]
	v_fmac_f32_e32 v70, v51, v14
	v_mul_f32_e32 v67, v48, v21
	v_mul_f32_e32 v68, v36, v23
	;; [unrolled: 1-line block ×4, first 2 shown]
	v_fmac_f32_e32 v43, v41, v18
	v_fmac_f32_e32 v69, v39, v12
	v_sub_f32_e32 v78, v42, v70
	v_mul_f32_e32 v57, v41, v19
	v_mul_f32_e32 v54, v30, v5
	;; [unrolled: 1-line block ×6, first 2 shown]
	v_fmac_f32_e32 v52, v35, v8
	v_fma_f32 v41, v26, v16, -v56
	v_fmac_f32_e32 v67, v49, v20
	v_fmac_f32_e32 v68, v37, v22
	v_fma_f32 v37, v38, v12, -v75
	v_fma_f32 v38, v50, v14, -v76
	v_sub_f32_e32 v80, v43, v69
	v_mul_f32_e32 v49, 0xbeedf032, v78
	v_mul_f32_e32 v58, v35, v9
	;; [unrolled: 1-line block ×8, first 2 shown]
	v_fma_f32 v40, v40, v18, -v57
	v_fmac_f32_e32 v54, v31, v4
	v_fma_f32 v31, v44, v6, -v61
	v_fma_f32 v44, v46, v0, -v71
	v_add_f32_e32 v26, v41, v38
	v_sub_f32_e32 v82, v41, v38
	v_sub_f32_e32 v85, v52, v68
	v_mul_f32_e32 v50, 0xbf52af12, v80
	v_mov_b32_e32 v46, v49
	v_mul_f32_e32 v53, v28, v11
	v_fma_f32 v34, v34, v8, -v58
	v_fma_f32 v35, v28, v10, -v59
	v_fmac_f32_e32 v55, v45, v6
	v_fma_f32 v32, v32, v2, -v72
	v_fmac_f32_e32 v63, v33, v2
	v_fma_f32 v33, v48, v20, -v73
	v_fma_f32 v45, v36, v22, -v74
	v_add_f32_e32 v28, v42, v70
	v_add_f32_e32 v27, v40, v37
	v_sub_f32_e32 v83, v40, v37
	v_mul_f32_e32 v72, 0xbeedf032, v82
	v_mul_f32_e32 v51, 0xbf7e222b, v85
	v_mov_b32_e32 v48, v50
	v_fmac_f32_e32 v46, 0x3f62ad3f, v26
	v_fmac_f32_e32 v53, v29, v10
	;; [unrolled: 1-line block ×3, first 2 shown]
	v_add_f32_e32 v29, v43, v69
	v_add_f32_e32 v36, v34, v45
	v_sub_f32_e32 v87, v34, v45
	v_mul_f32_e32 v73, 0xbf52af12, v83
	v_fma_f32 v47, v28, s16, -v72
	v_mov_b32_e32 v57, v51
	v_fmac_f32_e32 v48, 0x3f116cb1, v27
	v_add_f32_e32 v46, v24, v46
	v_add_f32_e32 v39, v52, v68
	v_mul_f32_e32 v74, 0xbf7e222b, v87
	v_fma_f32 v56, v29, s18, -v73
	v_add_f32_e32 v47, v25, v47
	v_fmac_f32_e32 v57, 0x3df6dbef, v36
	v_add_f32_e32 v46, v48, v46
	v_sub_f32_e32 v112, v53, v67
	v_add_f32_e32 v47, v56, v47
	v_add_f32_e32 v48, v57, v46
	v_fma_f32 v46, v39, s19, -v74
	v_mul_f32_e32 v76, 0xbf6f5d39, v112
	v_add_f32_e32 v56, v46, v47
	v_add_f32_e32 v46, v35, v33
	v_mov_b32_e32 v57, v76
	v_sub_f32_e32 v124, v35, v33
	v_add_f32_e32 v47, v53, v67
	v_fmac_f32_e32 v57, 0xbeb58ec6, v46
	v_mul_f32_e32 v79, 0xbf6f5d39, v124
	v_sub_f32_e32 v126, v54, v63
	v_fma_f32 v30, v30, v4, -v60
	v_add_f32_e32 v57, v57, v48
	v_fma_f32 v48, v47, s20, -v79
	v_mul_f32_e32 v81, 0xbf29c268, v126
	v_add_f32_e32 v56, v48, v56
	v_add_f32_e32 v48, v30, v32
	v_mov_b32_e32 v58, v81
	v_sub_f32_e32 v135, v30, v32
	v_fmac_f32_e32 v58, 0xbf3f9e67, v48
	v_add_f32_e32 v71, v54, v63
	v_mul_f32_e32 v84, 0xbf29c268, v135
	v_sub_f32_e32 v136, v55, v62
	v_add_f32_e32 v57, v58, v57
	v_fma_f32 v58, v71, s22, -v84
	v_mul_f32_e32 v86, 0xbe750f2a, v136
	v_add_f32_e32 v56, v58, v56
	v_add_f32_e32 v75, v31, v44
	v_mov_b32_e32 v58, v86
	v_sub_f32_e32 v140, v31, v44
	v_fmac_f32_e32 v58, 0xbf788fa5, v75
	v_add_f32_e32 v77, v55, v62
	v_mul_f32_e32 v88, 0xbe750f2a, v140
	v_add_f32_e32 v110, v58, v57
	v_fma_f32 v57, v77, s21, -v88
	v_mul_f32_e32 v113, 0xbf52af12, v78
	v_add_f32_e32 v111, v57, v56
	v_mov_b32_e32 v56, v113
	v_mul_f32_e32 v114, 0xbf6f5d39, v80
	v_fmac_f32_e32 v56, 0x3f116cb1, v26
	v_mov_b32_e32 v57, v114
	v_add_f32_e32 v56, v24, v56
	v_fmac_f32_e32 v57, 0xbeb58ec6, v27
	v_mul_f32_e32 v127, 0xbf52af12, v82
	v_add_f32_e32 v56, v57, v56
	v_fma_f32 v57, v28, s18, -v127
	v_mul_f32_e32 v129, 0xbf6f5d39, v83
	v_add_f32_e32 v57, v25, v57
	v_fma_f32 v58, v29, s20, -v129
	v_mul_f32_e32 v115, 0xbe750f2a, v85
	v_add_f32_e32 v57, v58, v57
	v_mov_b32_e32 v58, v115
	v_fmac_f32_e32 v58, 0xbf788fa5, v36
	v_mul_f32_e32 v131, 0xbe750f2a, v87
	v_add_f32_e32 v56, v58, v56
	v_fma_f32 v58, v39, s21, -v131
	v_mul_f32_e32 v125, 0x3f29c268, v112
	v_add_f32_e32 v57, v58, v57
	v_mov_b32_e32 v58, v125
	v_fmac_f32_e32 v58, 0xbf3f9e67, v46
	;; [unrolled: 7-line block ×4, first 2 shown]
	v_mul_f32_e32 v134, 0x3eedf032, v140
	v_add_f32_e32 v58, v58, v56
	v_fma_f32 v56, v77, s16, -v134
	v_mul_f32_e32 v137, 0xbf7e222b, v78
	v_add_f32_e32 v59, v56, v57
	v_mov_b32_e32 v56, v137
	v_mul_f32_e32 v138, 0xbe750f2a, v80
	v_fmac_f32_e32 v56, 0x3df6dbef, v26
	v_mov_b32_e32 v57, v138
	v_add_f32_e32 v56, v24, v56
	v_fmac_f32_e32 v57, 0xbf788fa5, v27
	v_mul_f32_e32 v142, 0xbf7e222b, v82
	v_add_f32_e32 v56, v57, v56
	v_fma_f32 v57, v28, s19, -v142
	v_mul_f32_e32 v144, 0xbe750f2a, v83
	v_add_f32_e32 v57, v25, v57
	v_fma_f32 v60, v29, s21, -v144
	v_mul_f32_e32 v139, 0x3f6f5d39, v85
	v_add_f32_e32 v57, v60, v57
	v_mov_b32_e32 v60, v139
	v_fmac_f32_e32 v60, 0xbeb58ec6, v36
	v_mul_f32_e32 v146, 0x3f6f5d39, v87
	v_add_f32_e32 v56, v60, v56
	v_fma_f32 v60, v39, s20, -v146
	v_mul_f32_e32 v141, 0x3eedf032, v112
	v_add_f32_e32 v57, v60, v57
	v_mov_b32_e32 v60, v141
	v_fmac_f32_e32 v60, 0x3f62ad3f, v46
	;; [unrolled: 7-line block ×4, first 2 shown]
	v_mul_f32_e32 v149, 0xbf29c268, v140
	v_add_f32_e32 v60, v60, v56
	v_fma_f32 v56, v77, s22, -v149
	v_mul_f32_e32 v150, 0xbf6f5d39, v78
	v_add_f32_e32 v61, v56, v57
	v_mov_b32_e32 v56, v150
	v_mul_f32_e32 v151, 0x3f29c268, v80
	v_fmac_f32_e32 v56, 0xbeb58ec6, v26
	v_mov_b32_e32 v57, v151
	v_add_f32_e32 v56, v24, v56
	v_fmac_f32_e32 v57, 0xbf3f9e67, v27
	v_mul_f32_e32 v154, 0xbf6f5d39, v82
	v_add_f32_e32 v56, v57, v56
	v_fma_f32 v57, v28, s20, -v154
	v_mul_f32_e32 v156, 0x3f29c268, v83
	v_add_f32_e32 v57, v25, v57
	v_fma_f32 v152, v29, s22, -v156
	v_add_f32_e32 v57, v152, v57
	v_mul_f32_e32 v152, 0x3eedf032, v85
	v_mov_b32_e32 v153, v152
	v_fmac_f32_e32 v153, 0x3f62ad3f, v36
	v_mul_f32_e32 v158, 0x3eedf032, v87
	v_add_f32_e32 v56, v153, v56
	v_fma_f32 v153, v39, s16, -v158
	v_add_f32_e32 v57, v153, v57
	v_mul_f32_e32 v153, 0xbf7e222b, v112
	v_mov_b32_e32 v155, v153
	v_fmac_f32_e32 v155, 0x3df6dbef, v46
	;; [unrolled: 7-line block ×4, first 2 shown]
	v_add_f32_e32 v56, v161, v56
	v_mul_f32_e32 v161, 0x3f52af12, v140
	v_fma_f32 v162, v77, s18, -v161
	v_add_f32_e32 v57, v162, v57
	s_and_saveexec_b64 s[14:15], s[2:3]
	s_cbranch_execz .LBB0_11
; %bb.10:
	v_mul_f32_e32 v212, 0xbe750f2a, v82
	v_mov_b32_e32 v162, v212
	v_mul_f32_e32 v213, 0x3eedf032, v83
	v_fmac_f32_e32 v162, 0xbf788fa5, v28
	v_mov_b32_e32 v163, v213
	v_add_f32_e32 v162, v25, v162
	v_fmac_f32_e32 v163, 0x3f62ad3f, v29
	v_mul_f32_e32 v214, 0xbf29c268, v87
	v_add_f32_e32 v162, v163, v162
	v_mov_b32_e32 v163, v214
	v_fmac_f32_e32 v163, 0xbf3f9e67, v39
	v_mul_f32_e32 v215, 0x3f52af12, v124
	v_add_f32_e32 v162, v163, v162
	v_mov_b32_e32 v163, v215
	;; [unrolled: 4-line block ×4, first 2 shown]
	v_fmac_f32_e32 v163, 0x3df6dbef, v77
	v_mul_f32_e32 v218, 0xbe750f2a, v78
	v_add_f32_e32 v163, v163, v162
	v_fma_f32 v162, v26, s21, -v218
	v_mul_f32_e32 v219, 0x3eedf032, v80
	v_add_f32_e32 v162, v24, v162
	v_fma_f32 v220, v27, s16, -v219
	v_add_f32_e32 v162, v220, v162
	v_mul_f32_e32 v220, 0xbf29c268, v85
	v_fma_f32 v221, v36, s22, -v220
	v_add_f32_e32 v162, v221, v162
	v_mul_f32_e32 v221, 0x3f52af12, v112
	;; [unrolled: 3-line block ×5, first 2 shown]
	v_mov_b32_e32 v82, v224
	v_mul_f32_e32 v225, 0x3f7e222b, v83
	v_fmac_f32_e32 v82, 0xbf3f9e67, v28
	v_mov_b32_e32 v83, v225
	v_add_f32_e32 v82, v25, v82
	v_fmac_f32_e32 v83, 0x3df6dbef, v29
	v_mul_f32_e32 v87, 0xbf52af12, v87
	v_add_f32_e32 v82, v83, v82
	v_mov_b32_e32 v83, v87
	v_fmac_f32_e32 v83, 0x3f116cb1, v39
	v_mul_f32_e32 v124, 0x3e750f2a, v124
	v_add_f32_e32 v82, v83, v82
	v_mov_b32_e32 v83, v124
	;; [unrolled: 4-line block ×4, first 2 shown]
	v_fmac_f32_e32 v83, 0xbeb58ec6, v77
	v_mul_f32_e32 v78, 0xbf29c268, v78
	v_add_f32_e32 v83, v83, v82
	v_fma_f32 v82, v26, s22, -v78
	v_mul_f32_e32 v80, 0x3f7e222b, v80
	v_add_f32_e32 v82, v24, v82
	v_fma_f32 v135, v27, s19, -v80
	;; [unrolled: 3-line block ×5, first 2 shown]
	v_mul_f32_e32 v229, 0xbf6f5d39, v136
	v_mul_f32_e32 v171, 0xbeb58ec6, v28
	v_add_f32_e32 v82, v126, v82
	v_fma_f32 v126, v75, s20, -v229
	v_mul_f32_e32 v179, 0xbf3f9e67, v29
	v_add_f32_e32 v82, v126, v82
	v_add_f32_e32 v126, v154, v171
	v_mul_f32_e32 v187, 0x3f62ad3f, v39
	v_add_f32_e32 v126, v25, v126
	v_add_f32_e32 v135, v156, v179
	;; [unrolled: 3-line block ×6, first 2 shown]
	v_mul_f32_e32 v178, 0xbf3f9e67, v27
	v_add_f32_e32 v136, v135, v126
	v_sub_f32_e32 v126, v170, v150
	v_mul_f32_e32 v186, 0x3f62ad3f, v36
	v_add_f32_e32 v126, v24, v126
	v_sub_f32_e32 v135, v178, v151
	v_mul_f32_e32 v194, 0x3df6dbef, v46
	v_add_f32_e32 v126, v135, v126
	v_sub_f32_e32 v135, v186, v152
	v_add_f32_e32 v41, v24, v41
	v_mul_f32_e32 v202, 0xbf788fa5, v48
	v_add_f32_e32 v126, v135, v126
	v_sub_f32_e32 v135, v194, v153
	v_add_f32_e32 v40, v41, v40
	v_mul_f32_e32 v210, 0x3f116cb1, v75
	v_add_f32_e32 v126, v135, v126
	v_sub_f32_e32 v135, v202, v155
	;; [unrolled: 4-line block ×3, first 2 shown]
	v_add_f32_e32 v34, v34, v35
	v_mul_f32_e32 v177, 0xbf788fa5, v29
	v_add_f32_e32 v135, v135, v126
	v_add_f32_e32 v126, v142, v169
	v_add_f32_e32 v30, v34, v30
	v_mul_f32_e32 v185, 0xbeb58ec6, v39
	v_add_f32_e32 v126, v25, v126
	v_add_f32_e32 v140, v144, v177
	;; [unrolled: 4-line block ×6, first 2 shown]
	v_add_f32_e32 v30, v30, v45
	v_mul_f32_e32 v176, 0xbf788fa5, v27
	v_add_f32_e32 v140, v140, v126
	v_sub_f32_e32 v126, v168, v137
	v_add_f32_e32 v42, v25, v42
	v_add_f32_e32 v30, v30, v37
	v_mul_f32_e32 v184, 0xbeb58ec6, v36
	v_add_f32_e32 v126, v24, v126
	v_sub_f32_e32 v137, v176, v138
	v_add_f32_e32 v42, v42, v43
	v_add_f32_e32 v41, v30, v38
	v_fma_f32 v30, v28, s21, -v212
	v_mul_f32_e32 v192, 0x3f62ad3f, v46
	v_add_f32_e32 v126, v137, v126
	v_sub_f32_e32 v137, v184, v139
	v_add_f32_e32 v42, v42, v52
	v_add_f32_e32 v30, v25, v30
	v_fma_f32 v31, v29, s16, -v213
	;; [unrolled: 6-line block ×3, first 2 shown]
	v_mul_f32_e32 v164, 0x3f62ad3f, v26
	v_mul_f32_e32 v165, 0x3f62ad3f, v28
	;; [unrolled: 1-line block ×3, first 2 shown]
	v_add_f32_e32 v126, v137, v126
	v_sub_f32_e32 v137, v200, v143
	v_add_f32_e32 v42, v42, v54
	v_add_f32_e32 v30, v31, v30
	v_fma_f32 v31, v47, s18, -v215
	v_mul_f32_e32 v166, 0x3f116cb1, v26
	v_mul_f32_e32 v167, 0x3f116cb1, v28
	;; [unrolled: 1-line block ×4, first 2 shown]
	v_add_f32_e32 v126, v137, v126
	v_sub_f32_e32 v137, v208, v145
	v_add_f32_e32 v72, v72, v165
	v_sub_f32_e32 v49, v164, v49
	v_add_f32_e32 v42, v42, v55
	v_add_f32_e32 v30, v31, v30
	v_fma_f32 v31, v71, s20, -v216
	v_mul_f32_e32 v174, 0xbeb58ec6, v27
	v_mul_f32_e32 v175, 0xbeb58ec6, v29
	;; [unrolled: 1-line block ×4, first 2 shown]
	v_add_f32_e32 v139, v137, v126
	v_add_f32_e32 v126, v127, v167
	v_sub_f32_e32 v113, v166, v113
	v_add_f32_e32 v72, v25, v72
	v_add_f32_e32 v73, v73, v173
	;; [unrolled: 1-line block ×3, first 2 shown]
	v_sub_f32_e32 v50, v172, v50
	v_add_f32_e32 v42, v42, v62
	v_add_f32_e32 v30, v31, v30
	v_fma_f32 v31, v77, s19, -v217
	v_fmac_f32_e32 v218, 0xbf788fa5, v26
	v_fma_f32 v28, v28, s22, -v224
	v_fmac_f32_e32 v78, 0xbf3f9e67, v26
	v_mul_f32_e32 v182, 0xbf788fa5, v36
	v_mul_f32_e32 v183, 0xbf788fa5, v39
	;; [unrolled: 1-line block ×4, first 2 shown]
	v_add_f32_e32 v126, v25, v126
	v_add_f32_e32 v127, v129, v175
	;; [unrolled: 1-line block ×3, first 2 shown]
	v_sub_f32_e32 v114, v174, v114
	v_add_f32_e32 v72, v73, v72
	v_add_f32_e32 v73, v74, v181
	;; [unrolled: 1-line block ×3, first 2 shown]
	v_sub_f32_e32 v50, v180, v51
	v_add_f32_e32 v42, v42, v63
	v_add_f32_e32 v31, v31, v30
	;; [unrolled: 1-line block ×3, first 2 shown]
	v_fmac_f32_e32 v219, 0x3f62ad3f, v27
	v_add_f32_e32 v25, v25, v28
	v_fma_f32 v28, v29, s19, -v225
	v_add_f32_e32 v24, v24, v78
	v_fmac_f32_e32 v80, 0x3df6dbef, v27
	v_mul_f32_e32 v190, 0xbf3f9e67, v46
	v_mul_f32_e32 v191, 0xbf3f9e67, v47
	;; [unrolled: 1-line block ×4, first 2 shown]
	v_add_f32_e32 v126, v127, v126
	v_add_f32_e32 v127, v131, v183
	;; [unrolled: 1-line block ×3, first 2 shown]
	v_sub_f32_e32 v114, v182, v115
	v_add_f32_e32 v72, v73, v72
	v_add_f32_e32 v73, v79, v189
	;; [unrolled: 1-line block ×3, first 2 shown]
	v_sub_f32_e32 v50, v188, v76
	v_add_f32_e32 v42, v42, v67
	v_add_f32_e32 v30, v219, v30
	v_fmac_f32_e32 v220, 0xbf3f9e67, v36
	v_add_f32_e32 v25, v28, v25
	v_fma_f32 v28, v39, s18, -v87
	v_add_f32_e32 v24, v80, v24
	v_fmac_f32_e32 v85, 0x3f116cb1, v36
	v_mul_f32_e32 v198, 0x3df6dbef, v48
	v_mul_f32_e32 v199, 0x3df6dbef, v71
	;; [unrolled: 1-line block ×4, first 2 shown]
	v_add_f32_e32 v126, v127, v126
	v_add_f32_e32 v127, v132, v191
	;; [unrolled: 1-line block ×3, first 2 shown]
	v_sub_f32_e32 v114, v190, v125
	v_add_f32_e32 v72, v73, v72
	v_add_f32_e32 v73, v84, v197
	;; [unrolled: 1-line block ×3, first 2 shown]
	v_sub_f32_e32 v50, v196, v81
	v_add_f32_e32 v42, v42, v68
	v_add_f32_e32 v30, v220, v30
	v_fmac_f32_e32 v221, 0x3f116cb1, v46
	v_add_f32_e32 v25, v28, v25
	v_fma_f32 v28, v47, s21, -v124
	v_add_f32_e32 v24, v85, v24
	v_fmac_f32_e32 v112, 0xbf788fa5, v46
	v_mul_f32_e32 v206, 0x3f62ad3f, v75
	v_mul_f32_e32 v207, 0x3f62ad3f, v77
	v_add_f32_e32 v126, v127, v126
	v_add_f32_e32 v127, v133, v199
	v_add_f32_e32 v113, v114, v113
	v_sub_f32_e32 v114, v198, v128
	v_add_f32_e32 v72, v73, v72
	v_add_f32_e32 v73, v88, v205
	;; [unrolled: 1-line block ×3, first 2 shown]
	v_sub_f32_e32 v50, v204, v86
	v_add_f32_e32 v42, v42, v69
	v_add_f32_e32 v30, v221, v30
	v_fmac_f32_e32 v222, 0xbeb58ec6, v48
	v_add_f32_e32 v25, v28, v25
	v_fma_f32 v28, v71, s16, -v226
	v_add_f32_e32 v24, v112, v24
	v_fmac_f32_e32 v228, 0x3f62ad3f, v48
	v_add_f32_e32 v126, v127, v126
	v_add_f32_e32 v127, v134, v207
	;; [unrolled: 1-line block ×3, first 2 shown]
	v_sub_f32_e32 v114, v206, v130
	v_add_f32_e32 v73, v73, v72
	v_add_f32_e32 v72, v50, v49
	;; [unrolled: 1-line block ×4, first 2 shown]
	v_fmac_f32_e32 v223, 0x3df6dbef, v75
	v_add_f32_e32 v25, v28, v25
	v_fma_f32 v28, v77, s20, -v227
	v_add_f32_e32 v24, v228, v24
	v_fmac_f32_e32 v229, 0xbeb58ec6, v75
	v_add_lshl_u32 v26, v119, v118, 3
	v_add_f32_e32 v126, v127, v126
	v_add_f32_e32 v125, v114, v113
	;; [unrolled: 1-line block ×5, first 2 shown]
	ds_write2_b64 v26, v[41:42], v[72:73] offset1:3
	ds_write2_b64 v26, v[125:126], v[139:140] offset0:6 offset1:9
	ds_write2_b64 v26, v[135:136], v[82:83] offset0:12 offset1:15
	;; [unrolled: 1-line block ×5, first 2 shown]
	ds_write_b64 v26, v[110:111] offset:288
.LBB0_11:
	s_or_b64 exec, exec, s[14:15]
	v_add_u32_e32 v24, 0x600, v116
	s_waitcnt lgkmcnt(0)
	s_barrier
	ds_read2_b64 v[32:35], v24 offset0:42 offset1:237
	v_add_u32_e32 v24, 0x1800, v116
	ds_read2_b64 v[48:51], v24 offset0:90 offset1:207
	v_add_u32_e32 v24, 0x1000, v116
	ds_read2_b64 v[44:47], v116 offset1:117
	ds_read2_b64 v[52:55], v24 offset0:34 offset1:151
	ds_read_b64 v[62:63], v116 offset:8736
	s_and_saveexec_b64 s[14:15], s[0:1]
	s_cbranch_execz .LBB0_13
; %bb.12:
	ds_read_b64 v[56:57], v116 offset:2808
	ds_read_b64 v[60:61], v116 offset:6240
	;; [unrolled: 1-line block ×3, first 2 shown]
.LBB0_13:
	s_or_b64 exec, exec, s[14:15]
	s_movk_i32 s14, 0xa5
	v_mul_lo_u16_sdwa v24, v117, s14 dst_sel:DWORD dst_unused:UNUSED_PAD src0_sel:BYTE_0 src1_sel:DWORD
	v_sub_u16_sdwa v25, v117, v24 dst_sel:DWORD dst_unused:UNUSED_PAD src0_sel:DWORD src1_sel:BYTE_1
	v_lshrrev_b16_e32 v25, 1, v25
	v_and_b32_e32 v25, 0x7f, v25
	v_add_u16_sdwa v24, v25, v24 dst_sel:DWORD dst_unused:UNUSED_PAD src0_sel:DWORD src1_sel:BYTE_1
	v_lshrrev_b16_e32 v24, 5, v24
	s_mov_b32 s15, 0xa41b
	v_and_b32_e32 v70, 7, v24
	v_mul_u32_u24_sdwa v24, v66, s15 dst_sel:DWORD dst_unused:UNUSED_PAD src0_sel:WORD_0 src1_sel:DWORD
	v_sub_u16_sdwa v25, v66, v24 dst_sel:DWORD dst_unused:UNUSED_PAD src0_sel:DWORD src1_sel:WORD_1
	v_lshrrev_b16_e32 v25, 1, v25
	v_add_u16_sdwa v24, v25, v24 dst_sel:DWORD dst_unused:UNUSED_PAD src0_sel:DWORD src1_sel:WORD_1
	v_lshrrev_b16_e32 v71, 5, v24
	v_mul_lo_u16_e32 v24, 39, v71
	v_mul_lo_u16_e32 v36, 39, v70
	v_sub_u16_e32 v72, v66, v24
	v_lshlrev_b16_e32 v24, 4, v72
	v_sub_u16_e32 v36, v117, v36
	v_mov_b32_e32 v26, s5
	v_add_co_u32_e32 v24, vcc, s4, v24
	v_and_b32_e32 v73, 0xff, v36
	v_addc_co_u32_e32 v25, vcc, 0, v26, vcc
	v_lshlrev_b32_e32 v36, 4, v73
	global_load_dwordx4 v[28:31], v[24:25], off offset:288
	global_load_dwordx4 v[40:43], v36, s[4:5] offset:288
	v_mul_u32_u24_sdwa v24, v65, s15 dst_sel:DWORD dst_unused:UNUSED_PAD src0_sel:WORD_0 src1_sel:DWORD
	v_sub_u16_sdwa v25, v65, v24 dst_sel:DWORD dst_unused:UNUSED_PAD src0_sel:DWORD src1_sel:WORD_1
	v_lshrrev_b16_e32 v25, 1, v25
	v_mul_lo_u16_sdwa v37, v64, s14 dst_sel:DWORD dst_unused:UNUSED_PAD src0_sel:BYTE_0 src1_sel:DWORD
	v_add_u16_sdwa v24, v25, v24 dst_sel:DWORD dst_unused:UNUSED_PAD src0_sel:DWORD src1_sel:WORD_1
	v_sub_u16_sdwa v38, v64, v37 dst_sel:DWORD dst_unused:UNUSED_PAD src0_sel:DWORD src1_sel:BYTE_1
	v_lshrrev_b16_e32 v124, 5, v24
	v_lshrrev_b16_e32 v38, 1, v38
	v_mul_lo_u16_e32 v24, 39, v124
	v_and_b32_e32 v38, 0x7f, v38
	v_sub_u16_e32 v125, v65, v24
	v_add_u16_sdwa v37, v38, v37 dst_sel:DWORD dst_unused:UNUSED_PAD src0_sel:DWORD src1_sel:BYTE_1
	v_lshlrev_b16_e32 v24, 4, v125
	v_lshrrev_b16_e32 v37, 5, v37
	v_add_co_u32_e32 v24, vcc, s4, v24
	v_and_b32_e32 v74, 7, v37
	v_addc_co_u32_e32 v25, vcc, 0, v26, vcc
	v_mul_lo_u16_e32 v37, 39, v74
	global_load_dwordx4 v[24:27], v[24:25], off offset:288
	v_sub_u16_e32 v36, v64, v37
	v_and_b32_e32 v75, 0xff, v36
	v_lshlrev_b32_e32 v36, 4, v75
	global_load_dwordx4 v[36:39], v36, s[4:5] offset:288
	s_movk_i32 s16, 0x75
	v_mul_u32_u24_sdwa v70, v70, s16 dst_sel:DWORD dst_unused:UNUSED_PAD src0_sel:WORD_0 src1_sel:DWORD
	v_add_lshl_u32 v126, v70, v73, 3
	s_waitcnt vmcnt(0) lgkmcnt(0)
	s_barrier
	v_mul_f32_e32 v64, v55, v29
	v_mul_f32_e32 v65, v54, v29
	v_fma_f32 v64, v54, v28, -v64
	v_fmac_f32_e32 v65, v55, v28
	v_mul_f32_e32 v68, v63, v31
	v_mul_f32_e32 v69, v62, v31
	v_fma_f32 v78, v62, v30, -v68
	v_fmac_f32_e32 v69, v63, v30
	v_mul_f32_e32 v76, v61, v25
	v_mul_f32_e32 v77, v59, v27
	;; [unrolled: 1-line block ×4, first 2 shown]
	v_fma_f32 v54, v60, v24, -v76
	v_fma_f32 v55, v58, v26, -v77
	v_fmac_f32_e32 v67, v59, v26
	v_mul_f32_e32 v58, v35, v41
	v_mul_f32_e32 v59, v34, v41
	;; [unrolled: 1-line block ×3, first 2 shown]
	v_fmac_f32_e32 v66, v61, v24
	v_mul_f32_e32 v61, v48, v43
	v_fma_f32 v34, v34, v40, -v58
	v_fmac_f32_e32 v59, v35, v40
	v_fma_f32 v35, v48, v42, -v60
	v_mul_f32_e32 v62, v53, v37
	v_mul_f32_e32 v68, v51, v39
	;; [unrolled: 1-line block ×3, first 2 shown]
	v_fmac_f32_e32 v61, v49, v42
	v_add_f32_e32 v49, v34, v35
	v_mul_f32_e32 v63, v52, v37
	v_fma_f32 v62, v52, v36, -v62
	v_fma_f32 v68, v50, v38, -v68
	v_fmac_f32_e32 v76, v51, v38
	v_add_f32_e32 v51, v45, v59
	v_add_f32_e32 v52, v59, v61
	v_fma_f32 v50, -0.5, v49, v44
	v_fmac_f32_e32 v63, v53, v36
	v_sub_f32_e32 v53, v59, v61
	v_add_f32_e32 v49, v51, v61
	v_fma_f32 v51, -0.5, v52, v45
	v_mov_b32_e32 v52, v50
	v_add_f32_e32 v48, v44, v34
	v_sub_f32_e32 v34, v34, v35
	v_fmac_f32_e32 v50, 0xbf5db3d7, v53
	v_fmac_f32_e32 v52, 0x3f5db3d7, v53
	v_mov_b32_e32 v53, v51
	v_fmac_f32_e32 v53, 0xbf5db3d7, v34
	v_fmac_f32_e32 v51, 0x3f5db3d7, v34
	v_add_f32_e32 v34, v46, v62
	v_add_f32_e32 v58, v34, v68
	;; [unrolled: 1-line block ×3, first 2 shown]
	v_fma_f32 v46, -0.5, v34, v46
	v_sub_f32_e32 v34, v63, v76
	v_mov_b32_e32 v60, v46
	v_fmac_f32_e32 v60, 0x3f5db3d7, v34
	v_fmac_f32_e32 v46, 0xbf5db3d7, v34
	v_add_f32_e32 v34, v47, v63
	v_add_f32_e32 v59, v34, v76
	v_add_f32_e32 v34, v63, v76
	v_fmac_f32_e32 v47, -0.5, v34
	v_sub_f32_e32 v34, v62, v68
	v_mov_b32_e32 v61, v47
	v_fmac_f32_e32 v61, 0xbf5db3d7, v34
	v_fmac_f32_e32 v47, 0x3f5db3d7, v34
	v_add_f32_e32 v34, v32, v64
	v_add_f32_e32 v62, v34, v78
	;; [unrolled: 1-line block ×3, first 2 shown]
	v_fma_f32 v32, -0.5, v34, v32
	v_sub_f32_e32 v34, v65, v69
	v_mov_b32_e32 v68, v32
	v_fmac_f32_e32 v68, 0x3f5db3d7, v34
	v_fmac_f32_e32 v32, 0xbf5db3d7, v34
	v_add_f32_e32 v34, v33, v65
	v_add_f32_e32 v63, v34, v69
	;; [unrolled: 1-line block ×3, first 2 shown]
	v_fmac_f32_e32 v33, -0.5, v34
	v_add_f32_e32 v48, v48, v35
	v_sub_f32_e32 v34, v64, v78
	v_mov_b32_e32 v69, v33
	v_fmac_f32_e32 v69, 0xbf5db3d7, v34
	v_fmac_f32_e32 v33, 0x3f5db3d7, v34
	v_add_f32_e32 v34, v54, v55
	v_add_f32_e32 v44, v66, v67
	ds_write2_b64 v126, v[48:49], v[52:53] offset1:39
	ds_write_b64 v126, v[50:51] offset:624
	v_mul_u32_u24_sdwa v48, v74, s16 dst_sel:DWORD dst_unused:UNUSED_PAD src0_sel:WORD_0 src1_sel:DWORD
	v_fma_f32 v34, -0.5, v34, v56
	v_fma_f32 v44, -0.5, v44, v57
	v_add_lshl_u32 v127, v48, v75, 3
	v_sub_f32_e32 v35, v66, v67
	v_mov_b32_e32 v64, v34
	v_sub_f32_e32 v45, v54, v55
	v_mov_b32_e32 v65, v44
	ds_write2_b64 v127, v[58:59], v[60:61] offset1:39
	ds_write_b64 v127, v[46:47] offset:624
	v_mad_legacy_u16 v46, v71, s16, v72
	v_fmac_f32_e32 v64, 0xbf5db3d7, v35
	v_fmac_f32_e32 v65, 0x3f5db3d7, v45
	v_lshlrev_b32_e32 v128, 3, v46
	ds_write2_b64 v128, v[62:63], v[68:69] offset1:39
	ds_write_b64 v128, v[32:33] offset:624
	s_and_saveexec_b64 s[14:15], s[0:1]
	s_cbranch_execz .LBB0_15
; %bb.14:
	v_mul_f32_e32 v32, 0x3f5db3d7, v35
	v_mul_f32_e32 v33, 0x3f5db3d7, v45
	v_sub_f32_e32 v33, v44, v33
	v_add_f32_e32 v35, v57, v66
	v_add_f32_e32 v32, v32, v34
	;; [unrolled: 1-line block ×3, first 2 shown]
	v_mad_legacy_u16 v44, v124, s16, v125
	v_add_f32_e32 v35, v35, v67
	v_add_f32_e32 v34, v34, v55
	v_lshlrev_b32_e32 v44, 3, v44
	ds_write2_b64 v44, v[34:35], v[32:33] offset1:39
	ds_write_b64 v44, v[64:65] offset:624
.LBB0_15:
	s_or_b64 exec, exec, s[14:15]
	v_mov_b32_e32 v33, s5
	s_movk_i32 s14, 0x50
	v_mov_b32_e32 v32, s4
	v_mad_u64_u32 v[60:61], s[4:5], v117, s14, v[32:33]
	s_waitcnt lgkmcnt(0)
	s_barrier
	global_load_dwordx4 v[52:55], v[60:61], off offset:912
	global_load_dwordx4 v[48:51], v[60:61], off offset:928
	;; [unrolled: 1-line block ×5, first 2 shown]
	ds_read2_b64 v[69:72], v116 offset1:117
	ds_read_b64 v[60:61], v116 offset:9360
	v_add_u32_e32 v112, 0x400, v116
	v_add_u32_e32 v68, 0xc00, v116
	;; [unrolled: 1-line block ×4, first 2 shown]
	ds_read2_b64 v[73:76], v112 offset0:106 offset1:223
	ds_read2_b64 v[77:80], v68 offset0:84 offset1:201
	;; [unrolled: 1-line block ×4, first 2 shown]
	v_mov_b32_e32 v66, s17
	v_addc_co_u32_e64 v131, vcc, 0, v66, s[6:7]
	s_mov_b32 s4, 0x3f575c64
	s_mov_b32 s5, 0x3ed4b147
	;; [unrolled: 1-line block ×5, first 2 shown]
	s_waitcnt vmcnt(4) lgkmcnt(5)
	v_mul_f32_e32 v66, v72, v53
	v_mul_f32_e32 v67, v71, v53
	s_waitcnt lgkmcnt(3)
	v_mul_f32_e32 v113, v74, v55
	v_mul_f32_e32 v114, v73, v55
	s_waitcnt vmcnt(2) lgkmcnt(2)
	v_mul_f32_e32 v133, v80, v45
	s_waitcnt vmcnt(0)
	v_mul_f32_e32 v144, v60, v59
	v_fma_f32 v66, v71, v52, -v66
	v_fmac_f32_e32 v67, v72, v52
	v_mul_f32_e32 v115, v76, v49
	v_mul_f32_e32 v129, v75, v49
	v_mul_f32_e32 v134, v79, v45
	v_mul_f32_e32 v143, v61, v59
	v_fma_f32 v71, v73, v54, -v113
	v_fmac_f32_e32 v114, v74, v54
	v_fma_f32 v74, v79, v44, -v133
	v_fmac_f32_e32 v144, v61, v58
	v_add_f32_e32 v61, v69, v66
	v_add_f32_e32 v79, v70, v67
	v_mul_f32_e32 v130, v78, v51
	v_mul_f32_e32 v132, v77, v51
	v_fma_f32 v72, v75, v48, -v115
	v_fmac_f32_e32 v129, v76, v48
	v_add_f32_e32 v61, v61, v71
	v_add_f32_e32 v79, v79, v114
	v_fma_f32 v73, v77, v50, -v130
	v_fmac_f32_e32 v132, v78, v50
	v_add_f32_e32 v61, v61, v72
	v_add_f32_e32 v79, v79, v129
	s_waitcnt lgkmcnt(1)
	v_mul_f32_e32 v135, v82, v47
	v_mul_f32_e32 v136, v81, v47
	v_fmac_f32_e32 v134, v80, v44
	v_add_f32_e32 v61, v61, v73
	v_add_f32_e32 v79, v79, v132
	v_mul_f32_e32 v137, v84, v33
	v_mul_f32_e32 v138, v83, v33
	v_fma_f32 v75, v81, v46, -v135
	v_fmac_f32_e32 v136, v82, v46
	v_add_f32_e32 v61, v61, v74
	v_add_f32_e32 v79, v79, v134
	s_waitcnt lgkmcnt(0)
	v_mul_f32_e32 v139, v86, v35
	v_mul_f32_e32 v140, v85, v35
	v_fma_f32 v76, v83, v32, -v137
	v_fmac_f32_e32 v138, v84, v32
	v_add_f32_e32 v61, v61, v75
	v_add_f32_e32 v79, v79, v136
	v_mul_f32_e32 v141, v88, v57
	v_mul_f32_e32 v142, v87, v57
	v_fma_f32 v77, v85, v34, -v139
	v_fmac_f32_e32 v140, v86, v34
	v_fma_f32 v60, v60, v58, -v143
	v_add_f32_e32 v81, v67, v144
	v_sub_f32_e32 v67, v67, v144
	v_add_f32_e32 v61, v61, v76
	v_add_f32_e32 v79, v79, v138
	v_fma_f32 v78, v87, v56, -v141
	v_fmac_f32_e32 v142, v88, v56
	v_add_f32_e32 v80, v66, v60
	v_sub_f32_e32 v66, v66, v60
	v_mul_f32_e32 v82, 0xbf0a6770, v67
	v_add_f32_e32 v61, v61, v77
	v_add_f32_e32 v79, v79, v140
	v_mul_f32_e32 v83, 0xbf0a6770, v66
	v_fma_f32 v84, v80, s4, -v82
	v_add_f32_e32 v61, v61, v78
	v_add_f32_e32 v79, v79, v142
	v_fmac_f32_e32 v82, 0x3f575c64, v80
	v_mov_b32_e32 v85, v83
	v_add_f32_e32 v60, v61, v60
	v_add_f32_e32 v61, v79, v144
	;; [unrolled: 1-line block ×3, first 2 shown]
	v_fma_f32 v82, v81, s4, -v83
	v_mul_f32_e32 v83, 0xbf68dda4, v67
	v_mul_f32_e32 v113, 0xbf7d64f0, v67
	;; [unrolled: 1-line block ×4, first 2 shown]
	v_fma_f32 v86, v80, s5, -v83
	v_fmac_f32_e32 v83, 0x3ed4b147, v80
	v_fma_f32 v115, v80, s6, -v113
	v_fmac_f32_e32 v113, 0xbe11bafb, v80
	;; [unrolled: 2-line block ×4, first 2 shown]
	v_add_f32_e32 v84, v69, v84
	v_add_f32_e32 v86, v69, v86
	v_mul_f32_e32 v87, 0xbf68dda4, v66
	v_add_f32_e32 v83, v69, v83
	v_add_f32_e32 v115, v69, v115
	v_mul_f32_e32 v130, 0xbf7d64f0, v66
	;; [unrolled: 3-line block ×4, first 2 shown]
	v_add_f32_e32 v67, v69, v67
	v_add_f32_e32 v69, v71, v78
	v_sub_f32_e32 v71, v71, v78
	v_sub_f32_e32 v78, v114, v142
	v_mov_b32_e32 v88, v87
	v_mov_b32_e32 v133, v130
	;; [unrolled: 1-line block ×4, first 2 shown]
	v_mul_f32_e32 v80, 0xbf68dda4, v78
	v_fmac_f32_e32 v85, 0x3f575c64, v81
	v_fmac_f32_e32 v88, 0x3ed4b147, v81
	v_fma_f32 v87, v81, s5, -v87
	v_fmac_f32_e32 v133, 0xbe11bafb, v81
	v_fma_f32 v130, v81, s6, -v130
	;; [unrolled: 2-line block ×4, first 2 shown]
	v_fma_f32 v81, v69, s5, -v80
	v_add_f32_e32 v85, v70, v85
	v_add_f32_e32 v82, v70, v82
	;; [unrolled: 1-line block ×12, first 2 shown]
	v_mul_f32_e32 v84, 0xbf68dda4, v71
	v_fmac_f32_e32 v80, 0x3ed4b147, v69
	v_add_f32_e32 v79, v80, v79
	v_fma_f32 v80, v70, s5, -v84
	v_add_f32_e32 v80, v80, v82
	v_mul_f32_e32 v82, 0xbf4178ce, v78
	v_mov_b32_e32 v114, v84
	v_fma_f32 v84, v69, s7, -v82
	v_fmac_f32_e32 v114, 0x3ed4b147, v70
	v_add_f32_e32 v84, v84, v86
	v_mul_f32_e32 v86, 0xbf4178ce, v71
	v_add_f32_e32 v85, v114, v85
	v_mov_b32_e32 v114, v86
	v_fmac_f32_e32 v82, 0xbf27a4f4, v69
	v_fmac_f32_e32 v114, 0xbf27a4f4, v70
	v_add_f32_e32 v82, v82, v83
	v_fma_f32 v83, v70, s7, -v86
	v_mul_f32_e32 v86, 0x3e903f40, v78
	v_add_f32_e32 v88, v114, v88
	v_add_f32_e32 v83, v83, v87
	v_fma_f32 v87, v69, s14, -v86
	v_mul_f32_e32 v114, 0x3e903f40, v71
	v_add_f32_e32 v87, v87, v115
	v_mov_b32_e32 v115, v114
	v_fmac_f32_e32 v86, 0xbf75a155, v69
	v_fmac_f32_e32 v115, 0xbf75a155, v70
	v_add_f32_e32 v86, v86, v113
	v_fma_f32 v113, v70, s14, -v114
	v_mul_f32_e32 v114, 0x3f7d64f0, v78
	v_add_f32_e32 v115, v115, v133
	v_add_f32_e32 v113, v113, v130
	v_fma_f32 v130, v69, s6, -v114
	v_mul_f32_e32 v133, 0x3f7d64f0, v71
	v_fmac_f32_e32 v114, 0xbe11bafb, v69
	v_mul_f32_e32 v78, 0x3f0a6770, v78
	v_mul_f32_e32 v71, 0x3f0a6770, v71
	v_add_f32_e32 v130, v130, v137
	v_mov_b32_e32 v137, v133
	v_add_f32_e32 v114, v114, v135
	v_fma_f32 v133, v70, s6, -v133
	v_fma_f32 v135, v69, s4, -v78
	v_fmac_f32_e32 v78, 0x3f575c64, v69
	v_fma_f32 v69, v70, s4, -v71
	v_add_f32_e32 v133, v133, v139
	v_mov_b32_e32 v139, v71
	v_add_f32_e32 v66, v69, v66
	v_add_f32_e32 v69, v72, v77
	v_sub_f32_e32 v71, v72, v77
	v_sub_f32_e32 v72, v129, v140
	v_mul_f32_e32 v77, 0xbf7d64f0, v72
	v_add_f32_e32 v67, v78, v67
	v_fma_f32 v78, v69, s6, -v77
	v_fmac_f32_e32 v137, 0xbe11bafb, v70
	v_fmac_f32_e32 v139, 0x3f575c64, v70
	v_add_f32_e32 v70, v129, v140
	v_add_f32_e32 v78, v78, v81
	v_mul_f32_e32 v81, 0xbf7d64f0, v71
	v_fmac_f32_e32 v77, 0xbe11bafb, v69
	v_add_f32_e32 v77, v77, v79
	v_fma_f32 v79, v70, s6, -v81
	v_add_f32_e32 v79, v79, v80
	v_mul_f32_e32 v80, 0x3e903f40, v72
	v_mov_b32_e32 v129, v81
	v_fma_f32 v81, v69, s14, -v80
	v_add_f32_e32 v81, v81, v84
	v_mul_f32_e32 v84, 0x3e903f40, v71
	v_fmac_f32_e32 v80, 0xbf75a155, v69
	v_add_f32_e32 v80, v80, v82
	v_fma_f32 v82, v70, s14, -v84
	v_fmac_f32_e32 v129, 0xbe11bafb, v70
	v_add_f32_e32 v82, v82, v83
	v_mul_f32_e32 v83, 0x3f68dda4, v72
	v_add_f32_e32 v85, v129, v85
	v_mov_b32_e32 v129, v84
	v_fma_f32 v84, v69, s5, -v83
	v_fmac_f32_e32 v129, 0xbf75a155, v70
	v_add_f32_e32 v84, v84, v87
	v_mul_f32_e32 v87, 0x3f68dda4, v71
	v_add_f32_e32 v88, v129, v88
	v_mov_b32_e32 v129, v87
	v_fmac_f32_e32 v83, 0x3ed4b147, v69
	v_fmac_f32_e32 v129, 0x3ed4b147, v70
	v_add_f32_e32 v83, v83, v86
	v_fma_f32 v86, v70, s5, -v87
	v_mul_f32_e32 v87, 0xbf0a6770, v72
	v_add_f32_e32 v115, v129, v115
	v_add_f32_e32 v86, v86, v113
	v_fma_f32 v113, v69, s4, -v87
	v_mul_f32_e32 v129, 0xbf0a6770, v71
	v_fmac_f32_e32 v87, 0x3f575c64, v69
	v_mul_f32_e32 v72, 0xbf4178ce, v72
	v_add_f32_e32 v113, v113, v130
	v_mov_b32_e32 v130, v129
	v_add_f32_e32 v87, v87, v114
	v_fma_f32 v114, v70, s4, -v129
	v_fma_f32 v129, v69, s7, -v72
	v_mul_f32_e32 v71, 0xbf4178ce, v71
	v_fmac_f32_e32 v72, 0xbf27a4f4, v69
	v_add_f32_e32 v67, v72, v67
	v_fma_f32 v69, v70, s7, -v71
	v_sub_f32_e32 v72, v132, v138
	v_add_f32_e32 v114, v114, v133
	v_mov_b32_e32 v133, v71
	v_add_f32_e32 v66, v69, v66
	v_add_f32_e32 v69, v73, v76
	v_sub_f32_e32 v71, v73, v76
	v_mul_f32_e32 v73, 0xbf4178ce, v72
	v_fma_f32 v76, v69, s7, -v73
	v_fmac_f32_e32 v130, 0x3f575c64, v70
	v_fmac_f32_e32 v133, 0xbf27a4f4, v70
	v_add_f32_e32 v70, v132, v138
	v_add_f32_e32 v76, v76, v78
	v_mul_f32_e32 v78, 0xbf4178ce, v71
	v_fmac_f32_e32 v73, 0xbf27a4f4, v69
	v_mov_b32_e32 v132, v78
	v_add_f32_e32 v73, v73, v77
	v_fma_f32 v77, v70, s7, -v78
	v_mul_f32_e32 v78, 0x3f7d64f0, v72
	v_add_f32_e32 v77, v77, v79
	v_fma_f32 v79, v69, s6, -v78
	v_add_f32_e32 v81, v79, v81
	v_mul_f32_e32 v79, 0x3f7d64f0, v71
	v_fmac_f32_e32 v78, 0xbe11bafb, v69
	v_add_f32_e32 v80, v78, v80
	v_fma_f32 v78, v70, s6, -v79
	v_fmac_f32_e32 v132, 0xbf27a4f4, v70
	v_add_f32_e32 v82, v78, v82
	v_mul_f32_e32 v78, 0xbf0a6770, v72
	v_add_f32_e32 v85, v132, v85
	v_mov_b32_e32 v132, v79
	v_fma_f32 v79, v69, s4, -v78
	v_add_f32_e32 v84, v79, v84
	v_mul_f32_e32 v79, 0xbf0a6770, v71
	v_fmac_f32_e32 v78, 0x3f575c64, v69
	v_add_f32_e32 v83, v78, v83
	v_fma_f32 v78, v70, s4, -v79
	v_fmac_f32_e32 v132, 0xbe11bafb, v70
	v_add_f32_e32 v86, v78, v86
	v_mul_f32_e32 v78, 0xbe903f40, v72
	v_add_f32_e32 v88, v132, v88
	v_mov_b32_e32 v132, v79
	v_fma_f32 v79, v69, s14, -v78
	v_add_f32_e32 v113, v79, v113
	v_mul_f32_e32 v79, 0xbe903f40, v71
	v_fmac_f32_e32 v78, 0xbf75a155, v69
	v_add_f32_e32 v135, v135, v143
	v_add_f32_e32 v87, v78, v87
	v_fma_f32 v78, v70, s14, -v79
	v_mul_f32_e32 v72, 0x3f68dda4, v72
	v_add_f32_e32 v129, v129, v135
	v_fmac_f32_e32 v132, 0x3f575c64, v70
	v_add_f32_e32 v114, v78, v114
	v_fma_f32 v78, v69, s5, -v72
	v_mul_f32_e32 v71, 0x3f68dda4, v71
	v_add_f32_e32 v137, v137, v141
	v_add_f32_e32 v139, v139, v144
	;; [unrolled: 1-line block ×3, first 2 shown]
	v_mov_b32_e32 v132, v79
	v_add_f32_e32 v129, v78, v129
	v_mov_b32_e32 v78, v71
	v_add_f32_e32 v130, v130, v137
	v_add_f32_e32 v133, v133, v139
	v_fmac_f32_e32 v132, 0xbf75a155, v70
	v_fmac_f32_e32 v78, 0x3ed4b147, v70
	;; [unrolled: 1-line block ×3, first 2 shown]
	v_add_f32_e32 v130, v132, v130
	v_add_f32_e32 v132, v78, v133
	;; [unrolled: 1-line block ×3, first 2 shown]
	v_fma_f32 v67, v70, s5, -v71
	v_add_f32_e32 v138, v134, v136
	v_sub_f32_e32 v134, v134, v136
	v_add_f32_e32 v135, v67, v66
	v_add_f32_e32 v137, v74, v75
	v_mul_f32_e32 v66, 0xbe903f40, v134
	v_sub_f32_e32 v139, v74, v75
	v_fma_f32 v67, v137, s14, -v66
	v_add_f32_e32 v69, v67, v76
	v_mul_f32_e32 v67, 0xbe903f40, v139
	v_fmac_f32_e32 v66, 0xbf75a155, v137
	v_add_f32_e32 v78, v66, v73
	v_fma_f32 v66, v138, s14, -v67
	v_add_f32_e32 v79, v66, v77
	v_mul_f32_e32 v66, 0x3f0a6770, v134
	v_mov_b32_e32 v70, v67
	v_fma_f32 v67, v137, s4, -v66
	v_mul_f32_e32 v75, 0xbf4178ce, v134
	v_add_f32_e32 v71, v67, v81
	v_mul_f32_e32 v67, 0x3f0a6770, v139
	v_fmac_f32_e32 v66, 0x3f575c64, v137
	v_fma_f32 v73, v137, s7, -v75
	v_fmac_f32_e32 v75, 0xbf27a4f4, v137
	v_mul_f32_e32 v77, 0x3f68dda4, v134
	v_mov_b32_e32 v72, v67
	v_add_f32_e32 v66, v66, v80
	v_fma_f32 v67, v138, s4, -v67
	v_add_f32_e32 v75, v75, v83
	v_fma_f32 v80, v137, s5, -v77
	v_mul_f32_e32 v83, 0x3f68dda4, v139
	v_fmac_f32_e32 v77, 0x3ed4b147, v137
	v_add_f32_e32 v67, v67, v82
	v_add_f32_e32 v82, v77, v87
	v_fma_f32 v77, v138, s5, -v83
	v_fmac_f32_e32 v70, 0xbf75a155, v138
	v_mul_f32_e32 v76, 0xbf4178ce, v139
	v_mov_b32_e32 v81, v83
	v_add_f32_e32 v83, v77, v114
	v_mul_f32_e32 v77, 0xbf7d64f0, v134
	v_mul_f32_e32 v87, 0xbf7d64f0, v139
	v_add_f32_e32 v70, v70, v85
	v_add_f32_e32 v73, v73, v84
	v_mov_b32_e32 v74, v76
	v_fma_f32 v76, v138, s7, -v76
	v_fma_f32 v84, v137, s6, -v77
	v_mov_b32_e32 v85, v87
	v_fmac_f32_e32 v77, 0xbe11bafb, v137
	v_fmac_f32_e32 v72, 0x3f575c64, v138
	;; [unrolled: 1-line block ×3, first 2 shown]
	v_add_f32_e32 v76, v76, v86
	v_fmac_f32_e32 v81, 0x3ed4b147, v138
	v_fmac_f32_e32 v85, 0xbe11bafb, v138
	v_add_f32_e32 v86, v77, v133
	v_fma_f32 v77, v138, s6, -v87
	s_movk_i32 s4, 0x2000
	v_add_f32_e32 v72, v72, v88
	v_add_f32_e32 v74, v74, v115
	;; [unrolled: 1-line block ×7, first 2 shown]
	ds_write2_b64 v116, v[60:61], v[69:70] offset1:117
	ds_write2_b64 v112, v[71:72], v[73:74] offset0:106 offset1:223
	ds_write2_b64 v68, v[80:81], v[84:85] offset0:84 offset1:201
	;; [unrolled: 1-line block ×4, first 2 shown]
	ds_write_b64 v116, v[78:79] offset:9360
	v_add_co_u32_e32 v60, vcc, s4, v89
	v_addc_co_u32_e32 v61, vcc, 0, v131, vcc
	s_waitcnt lgkmcnt(0)
	s_barrier
	global_load_dwordx2 v[69:70], v[60:61], off offset:2104
	s_movk_i32 s4, 0x2838
	v_add_co_u32_e32 v60, vcc, s4, v89
	v_addc_co_u32_e32 v61, vcc, 0, v131, vcc
	s_movk_i32 s4, 0x4000
	v_add_co_u32_e32 v71, vcc, s4, v89
	global_load_dwordx2 v[112:113], v[60:61], off offset:3432
	v_addc_co_u32_e32 v72, vcc, 0, v131, vcc
	global_load_dwordx2 v[114:115], v[71:72], off offset:776
	global_load_dwordx2 v[129:130], v[60:61], off offset:936
	s_movk_i32 s4, 0x3000
	v_add_co_u32_e32 v73, vcc, s4, v89
	v_addc_co_u32_e32 v74, vcc, 0, v131, vcc
	global_load_dwordx2 v[131:132], v[73:74], off offset:2376
	global_load_dwordx2 v[133:134], v[71:72], off offset:1712
	;; [unrolled: 1-line block ×4, first 2 shown]
                                        ; kill: killed $vgpr73 killed $vgpr74
	global_load_dwordx2 v[139:140], v[71:72], off offset:2648
	ds_read2_b64 v[71:74], v116 offset1:117
	v_add_u32_e32 v77, 0x1000, v116
	s_waitcnt vmcnt(8) lgkmcnt(0)
	v_mul_f32_e32 v75, v72, v70
	v_mul_f32_e32 v76, v71, v70
	v_fma_f32 v75, v71, v69, -v75
	v_fmac_f32_e32 v76, v72, v69
	ds_write_b64 v116, v[75:76]
	v_add_u32_e32 v72, 0x600, v116
	v_add_u32_e32 v76, 0x1800, v116
	ds_read2_b64 v[80:83], v72 offset0:42 offset1:237
	ds_read2_b64 v[84:87], v76 offset0:90 offset1:207
	s_waitcnt vmcnt(7) lgkmcnt(1)
	v_mul_f32_e32 v69, v83, v113
	v_mul_f32_e32 v70, v82, v113
	s_waitcnt vmcnt(6) lgkmcnt(0)
	v_mul_f32_e32 v71, v85, v115
	v_mul_f32_e32 v113, v84, v115
	v_fma_f32 v69, v82, v112, -v69
	v_fmac_f32_e32 v70, v83, v112
	v_fma_f32 v112, v84, v114, -v71
	v_fmac_f32_e32 v113, v85, v114
	ds_read2_b64 v[82:85], v77 offset0:34 offset1:151
	s_waitcnt vmcnt(5)
	v_mul_f32_e32 v71, v74, v130
	v_mul_f32_e32 v115, v73, v130
	v_fma_f32 v114, v73, v129, -v71
	v_fmac_f32_e32 v115, v74, v129
	s_waitcnt vmcnt(4) lgkmcnt(0)
	v_mul_f32_e32 v71, v83, v132
	v_mul_f32_e32 v74, v82, v132
	v_fma_f32 v73, v82, v131, -v71
	v_fmac_f32_e32 v74, v83, v131
	ds_write2_b64 v68, v[69:70], v[73:74] offset0:45 offset1:162
	s_waitcnt vmcnt(2)
	v_mul_f32_e32 v70, v81, v136
	v_mul_f32_e32 v71, v80, v136
	v_fma_f32 v70, v80, v135, -v70
	v_fmac_f32_e32 v71, v81, v135
	ds_write2_b64 v116, v[114:115], v[70:71] offset0:117 offset1:234
	ds_read_b64 v[70:71], v116 offset:8736
	s_waitcnt vmcnt(1)
	v_mul_f32_e32 v73, v85, v138
	v_mul_f32_e32 v74, v84, v138
	v_fma_f32 v73, v84, v137, -v73
	v_fmac_f32_e32 v74, v85, v137
	v_mul_f32_e32 v68, v87, v134
	v_mul_f32_e32 v69, v86, v134
	ds_write2_b64 v63, v[73:74], v[112:113] offset0:23 offset1:218
	s_waitcnt vmcnt(0) lgkmcnt(1)
	v_mul_f32_e32 v63, v71, v140
	v_mul_f32_e32 v74, v70, v140
	v_fma_f32 v68, v86, v133, -v68
	v_fmac_f32_e32 v69, v87, v133
	v_fma_f32 v73, v70, v139, -v63
	v_fmac_f32_e32 v74, v71, v139
	ds_write2_b64 v62, v[68:69], v[73:74] offset0:79 offset1:196
	s_and_saveexec_b64 s[4:5], s[0:1]
	s_cbranch_execz .LBB0_17
; %bb.16:
	v_add_co_u32_e32 v68, vcc, 0x1000, v60
	v_addc_co_u32_e32 v69, vcc, 0, v61, vcc
	global_load_dwordx2 v[62:63], v[60:61], off offset:2808
	v_add_co_u32_e32 v60, vcc, 0x2000, v60
	global_load_dwordx2 v[68:69], v[68:69], off offset:2144
	v_addc_co_u32_e32 v61, vcc, 0, v61, vcc
	global_load_dwordx2 v[60:61], v[60:61], off offset:1480
	ds_read_b64 v[70:71], v116 offset:2808
	ds_read_b64 v[73:74], v116 offset:6240
	;; [unrolled: 1-line block ×3, first 2 shown]
	s_waitcnt vmcnt(2) lgkmcnt(2)
	v_mul_f32_e32 v75, v71, v63
	v_mul_f32_e32 v83, v70, v63
	v_fma_f32 v82, v70, v62, -v75
	v_fmac_f32_e32 v83, v71, v62
	s_waitcnt vmcnt(1) lgkmcnt(1)
	v_mul_f32_e32 v62, v74, v69
	v_mul_f32_e32 v63, v73, v69
	v_fma_f32 v62, v73, v68, -v62
	v_fmac_f32_e32 v63, v74, v68
	;; [unrolled: 5-line block ×3, first 2 shown]
	ds_write_b64 v116, v[82:83] offset:2808
	ds_write_b64 v116, v[62:63] offset:6240
	;; [unrolled: 1-line block ×3, first 2 shown]
.LBB0_17:
	s_or_b64 exec, exec, s[4:5]
	s_waitcnt lgkmcnt(0)
	s_barrier
	ds_read2_b64 v[68:71], v116 offset1:117
	ds_read2_b64 v[72:75], v72 offset0:42 offset1:237
	ds_read2_b64 v[85:88], v76 offset0:90 offset1:207
	;; [unrolled: 1-line block ×3, first 2 shown]
	ds_read_b64 v[114:115], v116 offset:8736
	s_and_saveexec_b64 s[4:5], s[0:1]
	s_cbranch_execz .LBB0_19
; %bb.18:
	ds_read_b64 v[66:67], v116 offset:2808
	ds_read_b64 v[78:79], v116 offset:6240
	;; [unrolled: 1-line block ×3, first 2 shown]
.LBB0_19:
	s_or_b64 exec, exec, s[4:5]
	s_waitcnt lgkmcnt(2)
	v_add_f32_e32 v63, v75, v86
	v_add_f32_e32 v61, v74, v85
	v_fma_f32 v77, -0.5, v63, v69
	v_add_f32_e32 v60, v68, v74
	v_fma_f32 v76, -0.5, v61, v68
	v_sub_f32_e32 v68, v74, v85
	v_mov_b32_e32 v63, v77
	v_fmac_f32_e32 v63, 0x3f5db3d7, v68
	v_fmac_f32_e32 v77, 0xbf5db3d7, v68
	s_waitcnt lgkmcnt(1)
	v_add_f32_e32 v68, v70, v81
	v_add_f32_e32 v112, v68, v87
	;; [unrolled: 1-line block ×3, first 2 shown]
	v_sub_f32_e32 v61, v75, v86
	v_mov_b32_e32 v62, v76
	v_fma_f32 v70, -0.5, v68, v70
	v_fmac_f32_e32 v62, 0xbf5db3d7, v61
	v_fmac_f32_e32 v76, 0x3f5db3d7, v61
	v_add_f32_e32 v61, v69, v75
	v_sub_f32_e32 v69, v82, v88
	v_mov_b32_e32 v68, v70
	v_fmac_f32_e32 v68, 0xbf5db3d7, v69
	v_fmac_f32_e32 v70, 0x3f5db3d7, v69
	v_add_f32_e32 v69, v71, v82
	v_add_f32_e32 v113, v69, v88
	;; [unrolled: 1-line block ×3, first 2 shown]
	v_fmac_f32_e32 v71, -0.5, v69
	v_sub_f32_e32 v74, v81, v87
	v_mov_b32_e32 v69, v71
	v_fmac_f32_e32 v69, 0x3f5db3d7, v74
	v_fmac_f32_e32 v71, 0xbf5db3d7, v74
	v_add_f32_e32 v74, v72, v83
	s_waitcnt lgkmcnt(0)
	v_add_f32_e32 v80, v74, v114
	v_add_f32_e32 v74, v83, v114
	v_fma_f32 v72, -0.5, v74, v72
	v_sub_f32_e32 v74, v84, v115
	v_mov_b32_e32 v82, v72
	v_fmac_f32_e32 v82, 0xbf5db3d7, v74
	v_fmac_f32_e32 v72, 0x3f5db3d7, v74
	v_add_f32_e32 v74, v73, v84
	v_add_f32_e32 v81, v74, v115
	;; [unrolled: 1-line block ×3, first 2 shown]
	v_fmac_f32_e32 v73, -0.5, v74
	v_sub_f32_e32 v74, v83, v114
	v_mov_b32_e32 v83, v73
	v_add_f32_e32 v75, v78, v64
	v_fmac_f32_e32 v83, 0x3f5db3d7, v74
	v_fmac_f32_e32 v73, 0xbf5db3d7, v74
	v_add_f32_e32 v74, v66, v78
	v_fmac_f32_e32 v66, -0.5, v75
	v_sub_f32_e32 v75, v79, v65
	v_mov_b32_e32 v84, v66
	v_fmac_f32_e32 v84, 0xbf5db3d7, v75
	v_fmac_f32_e32 v66, 0x3f5db3d7, v75
	v_add_f32_e32 v75, v67, v79
	v_add_f32_e32 v75, v75, v65
	;; [unrolled: 1-line block ×3, first 2 shown]
	v_fmac_f32_e32 v67, -0.5, v65
	v_add_f32_e32 v60, v60, v85
	v_add_f32_e32 v74, v74, v64
	v_sub_f32_e32 v64, v78, v64
	v_mov_b32_e32 v85, v67
	v_add_f32_e32 v61, v61, v86
	v_fmac_f32_e32 v85, 0x3f5db3d7, v64
	v_fmac_f32_e32 v67, 0xbf5db3d7, v64
	s_barrier
	ds_write2_b64 v120, v[60:61], v[62:63] offset1:1
	ds_write_b64 v120, v[76:77] offset:16
	ds_write2_b64 v121, v[112:113], v[68:69] offset1:1
	ds_write_b64 v121, v[70:71] offset:16
	ds_write2_b64 v122, v[80:81], v[82:83] offset1:1
	ds_write_b64 v122, v[72:73] offset:16
	s_and_saveexec_b64 s[4:5], s[0:1]
	s_cbranch_execz .LBB0_21
; %bb.20:
	v_lshlrev_b32_e32 v64, 3, v123
	ds_write2_b64 v64, v[74:75], v[84:85] offset1:1
	ds_write_b64 v64, v[66:67] offset:16
.LBB0_21:
	s_or_b64 exec, exec, s[4:5]
	s_waitcnt lgkmcnt(0)
	s_barrier
	s_and_saveexec_b64 s[4:5], s[2:3]
	s_cbranch_execz .LBB0_23
; %bb.22:
	v_add_u32_e32 v64, 0x400, v116
	ds_read2_b64 v[76:79], v64 offset0:70 offset1:169
	v_add_u32_e32 v64, 0x800, v116
	ds_read2_b64 v[68:71], v64 offset0:140 offset1:239
	v_add_u32_e32 v64, 0x1800, v116
	ds_read2_b64 v[60:63], v116 offset1:99
	v_add_u32_e32 v80, 0x1000, v116
	ds_read2_b64 v[72:75], v64 offset0:24 offset1:123
	v_add_u32_e32 v64, 0x1c00, v116
	ds_read2_b64 v[64:67], v64 offset0:94 offset1:193
	ds_read2_b64 v[80:83], v80 offset0:82 offset1:181
	ds_read_b64 v[110:111], v116 offset:9504
	s_waitcnt lgkmcnt(6)
	v_mov_b32_e32 v112, v78
	v_mov_b32_e32 v113, v79
	s_waitcnt lgkmcnt(2)
	v_mov_b32_e32 v84, v64
	v_mov_b32_e32 v85, v65
.LBB0_23:
	s_or_b64 exec, exec, s[4:5]
	v_mul_f32_e32 v64, v17, v63
	v_mul_f32_e32 v17, v17, v62
	v_fmac_f32_e32 v64, v16, v62
	v_fma_f32 v65, v16, v63, -v17
	v_mul_f32_e32 v62, v19, v77
	v_mul_f32_e32 v16, v19, v76
	;; [unrolled: 1-line block ×4, first 2 shown]
	v_fmac_f32_e32 v62, v18, v76
	v_fma_f32 v76, v18, v77, -v16
	v_fmac_f32_e32 v63, v8, v112
	v_fma_f32 v77, v8, v113, -v9
	v_mul_f32_e32 v8, v11, v69
	v_mul_f32_e32 v9, v11, v68
	v_fmac_f32_e32 v8, v10, v68
	v_fma_f32 v10, v10, v69, -v9
	v_mul_f32_e32 v9, v5, v71
	v_mul_f32_e32 v5, v5, v70
	v_fmac_f32_e32 v9, v4, v70
	v_fma_f32 v11, v4, v71, -v5
	s_waitcnt lgkmcnt(1)
	v_mul_f32_e32 v4, v7, v81
	v_mul_f32_e32 v5, v7, v80
	v_fmac_f32_e32 v4, v6, v80
	v_fma_f32 v69, v6, v81, -v5
	v_mul_f32_e32 v6, v1, v83
	v_mul_f32_e32 v1, v1, v82
	v_fmac_f32_e32 v6, v0, v82
	v_fma_f32 v71, v0, v83, -v1
	;; [unrolled: 4-line block ×3, first 2 shown]
	v_mul_f32_e32 v0, v21, v74
	v_fma_f32 v73, v20, v75, -v0
	v_mul_f32_e32 v70, v23, v85
	v_mul_f32_e32 v0, v23, v84
	v_fmac_f32_e32 v70, v22, v84
	v_fma_f32 v23, v22, v85, -v0
	v_mul_f32_e32 v22, v13, v67
	v_mul_f32_e32 v0, v13, v66
	v_fmac_f32_e32 v22, v12, v66
	v_fma_f32 v66, v12, v67, -v0
	s_waitcnt lgkmcnt(0)
	v_mul_f32_e32 v0, v15, v110
	v_mul_f32_e32 v13, v15, v111
	v_fma_f32 v15, v14, v111, -v0
	v_fmac_f32_e32 v13, v14, v110
	v_sub_f32_e32 v79, v65, v15
	v_add_f32_e32 v0, v13, v64
	v_add_f32_e32 v81, v15, v65
	s_mov_b32 s6, 0x3f116cb1
	v_mul_f32_e32 v83, 0xbf52af12, v79
	v_mul_f32_e32 v86, 0x3f116cb1, v81
	v_fma_f32 v2, v0, s6, -v83
	v_sub_f32_e32 v1, v64, v13
	v_add_f32_e32 v5, v60, v2
	v_mov_b32_e32 v2, v86
	v_fmac_f32_e32 v2, 0xbf52af12, v1
	s_mov_b32 s7, 0x3df6dbef
	v_mul_f32_e32 v111, 0xbf7e222b, v79
	v_add_f32_e32 v12, v61, v2
	v_mul_f32_e32 v113, 0x3df6dbef, v81
	v_fma_f32 v2, v0, s7, -v111
	v_add_f32_e32 v14, v60, v2
	v_mov_b32_e32 v2, v113
	v_fmac_f32_e32 v2, 0xbf7e222b, v1
	s_mov_b32 s14, 0xbeb58ec6
	v_mul_f32_e32 v123, 0xbf6f5d39, v79
	v_add_f32_e32 v16, v61, v2
	v_mul_f32_e32 v133, 0xbeb58ec6, v81
	v_fma_f32 v2, v0, s14, -v123
	v_add_f32_e32 v17, v60, v2
	v_mov_b32_e32 v2, v133
	v_fmac_f32_e32 v2, 0xbf6f5d39, v1
	v_sub_f32_e32 v82, v76, v66
	v_add_f32_e32 v18, v61, v2
	v_add_f32_e32 v2, v22, v62
	;; [unrolled: 1-line block ×3, first 2 shown]
	v_mul_f32_e32 v87, 0xbf6f5d39, v82
	v_mul_f32_e32 v112, 0xbeb58ec6, v84
	v_fma_f32 v19, v2, s14, -v87
	v_sub_f32_e32 v3, v62, v22
	v_add_f32_e32 v19, v19, v5
	v_mov_b32_e32 v5, v112
	v_mul_f32_e32 v68, v21, v75
	v_fmac_f32_e32 v5, 0xbf6f5d39, v3
	s_mov_b32 s15, 0xbf788fa5
	v_mul_f32_e32 v121, 0xbe750f2a, v82
	v_fmac_f32_e32 v68, v20, v74
	v_add_f32_e32 v20, v5, v12
	v_mul_f32_e32 v129, 0xbf788fa5, v84
	v_fma_f32 v5, v2, s15, -v121
	v_add_f32_e32 v14, v5, v14
	v_mov_b32_e32 v5, v129
	v_fmac_f32_e32 v5, 0xbe750f2a, v3
	s_mov_b32 s16, 0xbf3f9e67
	v_mul_f32_e32 v136, 0x3f29c268, v82
	v_add_f32_e32 v16, v5, v16
	v_mul_f32_e32 v140, 0xbf3f9e67, v84
	v_fma_f32 v5, v2, s16, -v136
	v_add_f32_e32 v17, v5, v17
	v_mov_b32_e32 v5, v140
	v_fmac_f32_e32 v5, 0x3f29c268, v3
	v_sub_f32_e32 v85, v77, v23
	v_add_f32_e32 v18, v5, v18
	v_add_f32_e32 v5, v70, v63
	;; [unrolled: 1-line block ×3, first 2 shown]
	v_mul_f32_e32 v114, 0xbe750f2a, v85
	v_mul_f32_e32 v122, 0xbf788fa5, v88
	v_fma_f32 v21, v5, s15, -v114
	v_sub_f32_e32 v12, v63, v70
	v_add_f32_e32 v19, v21, v19
	v_mov_b32_e32 v21, v122
	v_fmac_f32_e32 v21, 0xbe750f2a, v12
	v_mul_f32_e32 v134, 0x3f6f5d39, v85
	v_add_f32_e32 v20, v21, v20
	v_mul_f32_e32 v137, 0xbeb58ec6, v88
	v_fma_f32 v21, v5, s14, -v134
	v_add_f32_e32 v21, v21, v14
	v_mov_b32_e32 v14, v137
	v_fmac_f32_e32 v14, 0x3f6f5d39, v12
	s_mov_b32 s17, 0x3f62ad3f
	v_mul_f32_e32 v143, 0x3eedf032, v85
	v_add_f32_e32 v16, v14, v16
	v_mul_f32_e32 v146, 0x3f62ad3f, v88
	v_fma_f32 v14, v5, s17, -v143
	v_add_f32_e32 v17, v14, v17
	v_mov_b32_e32 v14, v146
	v_fmac_f32_e32 v14, 0x3eedf032, v12
	v_sub_f32_e32 v110, v10, v73
	v_add_f32_e32 v18, v14, v18
	v_add_f32_e32 v14, v68, v8
	v_add_f32_e32 v120, v73, v10
	v_mul_f32_e32 v131, 0x3f29c268, v110
	v_mul_f32_e32 v135, 0xbf3f9e67, v120
	v_fma_f32 v74, v14, s16, -v131
	v_sub_f32_e32 v67, v8, v68
	v_add_f32_e32 v19, v74, v19
	v_mov_b32_e32 v74, v135
	v_fmac_f32_e32 v74, 0x3f29c268, v67
	v_mul_f32_e32 v141, 0x3eedf032, v110
	v_add_f32_e32 v20, v74, v20
	v_mul_f32_e32 v144, 0x3f62ad3f, v120
	v_fma_f32 v74, v14, s17, -v141
	v_add_f32_e32 v21, v74, v21
	v_mov_b32_e32 v74, v144
	v_fmac_f32_e32 v74, 0x3eedf032, v67
	v_mul_f32_e32 v149, 0xbf7e222b, v110
	v_add_f32_e32 v16, v74, v16
	v_mul_f32_e32 v151, 0x3df6dbef, v120
	v_fma_f32 v74, v14, s7, -v149
	v_add_f32_e32 v17, v74, v17
	v_mov_b32_e32 v74, v151
	v_fmac_f32_e32 v74, 0xbf7e222b, v67
	v_sub_f32_e32 v115, v11, v72
	v_add_f32_e32 v18, v74, v18
	v_add_f32_e32 v74, v7, v9
	v_add_f32_e32 v132, v72, v11
	v_mul_f32_e32 v139, 0x3f7e222b, v115
	v_mul_f32_e32 v142, 0x3df6dbef, v132
	v_fma_f32 v78, v74, s7, -v139
	v_sub_f32_e32 v75, v9, v7
	v_add_f32_e32 v19, v78, v19
	v_mov_b32_e32 v78, v142
	v_fmac_f32_e32 v78, 0x3f7e222b, v75
	v_mul_f32_e32 v147, 0xbf52af12, v115
	v_add_f32_e32 v20, v78, v20
	v_mul_f32_e32 v150, 0x3f116cb1, v132
	v_fma_f32 v78, v74, s6, -v147
	v_add_f32_e32 v21, v78, v21
	v_mov_b32_e32 v78, v150
	v_fmac_f32_e32 v78, 0xbf52af12, v75
	;; [unrolled: 25-line block ×3, first 2 shown]
	v_mul_f32_e32 v156, 0x3f52af12, v130
	v_add_f32_e32 v21, v21, v16
	v_mul_f32_e32 v157, 0x3f116cb1, v138
	v_fma_f32 v16, v78, s6, -v156
	v_add_f32_e32 v16, v16, v17
	v_mov_b32_e32 v17, v157
	v_fmac_f32_e32 v17, 0x3f52af12, v80
	v_add_f32_e32 v17, v17, v158
	s_barrier
	s_and_saveexec_b64 s[4:5], s[2:3]
	s_cbranch_execz .LBB0_25
; %bb.24:
	v_mul_f32_e32 v167, 0xbf6f5d39, v1
	v_mul_f32_e32 v173, 0x3f29c268, v3
	v_sub_f32_e32 v133, v133, v167
	v_mul_f32_e32 v179, 0x3eedf032, v12
	v_add_f32_e32 v133, v61, v133
	v_sub_f32_e32 v140, v140, v173
	v_mul_f32_e32 v185, 0xbf7e222b, v67
	v_add_f32_e32 v133, v140, v133
	;; [unrolled: 3-line block ×3, first 2 shown]
	v_sub_f32_e32 v140, v151, v185
	v_mul_f32_e32 v166, 0xbeb58ec6, v0
	v_mul_f32_e32 v197, 0x3f52af12, v80
	v_add_f32_e32 v133, v140, v133
	v_sub_f32_e32 v140, v155, v191
	v_mul_f32_e32 v172, 0xbf3f9e67, v2
	v_add_f32_e32 v133, v140, v133
	v_sub_f32_e32 v140, v157, v197
	v_add_f32_e32 v123, v166, v123
	v_mul_f32_e32 v178, 0x3f62ad3f, v5
	v_add_f32_e32 v157, v140, v133
	v_add_f32_e32 v123, v60, v123
	;; [unrolled: 1-line block ×3, first 2 shown]
	v_mul_f32_e32 v184, 0x3df6dbef, v14
	v_add_f32_e32 v123, v133, v123
	v_add_f32_e32 v133, v178, v143
	v_mul_f32_e32 v190, 0xbf788fa5, v74
	v_add_f32_e32 v123, v133, v123
	v_add_f32_e32 v133, v184, v149
	v_mul_f32_e32 v165, 0xbf7e222b, v1
	v_mul_f32_e32 v196, 0x3f116cb1, v78
	v_add_f32_e32 v123, v133, v123
	v_add_f32_e32 v133, v190, v153
	v_mul_f32_e32 v171, 0xbe750f2a, v3
	v_mul_f32_e32 v198, 0xbf788fa5, v81
	v_add_f32_e32 v123, v133, v123
	v_add_f32_e32 v133, v196, v156
	v_sub_f32_e32 v113, v113, v165
	v_mul_f32_e32 v177, 0x3f6f5d39, v12
	v_mov_b32_e32 v158, v198
	v_mul_f32_e32 v199, 0x3f62ad3f, v84
	v_add_f32_e32 v156, v133, v123
	v_add_f32_e32 v113, v61, v113
	v_sub_f32_e32 v123, v129, v171
	v_mul_f32_e32 v183, 0x3eedf032, v67
	v_fmac_f32_e32 v158, 0x3e750f2a, v1
	v_mov_b32_e32 v159, v199
	v_add_f32_e32 v113, v123, v113
	v_sub_f32_e32 v123, v137, v177
	v_mul_f32_e32 v189, 0xbf52af12, v75
	v_add_f32_e32 v158, v61, v158
	v_fmac_f32_e32 v159, 0xbeedf032, v3
	v_mul_f32_e32 v200, 0xbf3f9e67, v88
	v_add_f32_e32 v113, v123, v113
	v_sub_f32_e32 v123, v144, v183
	v_mul_f32_e32 v164, 0x3df6dbef, v0
	v_mul_f32_e32 v195, 0xbf29c268, v80
	v_add_f32_e32 v158, v159, v158
	v_mov_b32_e32 v159, v200
	v_add_f32_e32 v113, v123, v113
	v_sub_f32_e32 v123, v150, v189
	v_mul_f32_e32 v170, 0xbf788fa5, v2
	v_fmac_f32_e32 v159, 0x3f29c268, v12
	v_mul_f32_e32 v201, 0x3f116cb1, v120
	v_add_f32_e32 v113, v123, v113
	v_sub_f32_e32 v123, v154, v195
	v_add_f32_e32 v111, v164, v111
	v_mul_f32_e32 v176, 0xbeb58ec6, v5
	v_add_f32_e32 v158, v159, v158
	v_mov_b32_e32 v159, v201
	v_add_f32_e32 v137, v123, v113
	v_add_f32_e32 v111, v60, v111
	;; [unrolled: 1-line block ×3, first 2 shown]
	v_mul_f32_e32 v182, 0x3f62ad3f, v14
	v_fmac_f32_e32 v159, 0xbf52af12, v67
	v_mul_f32_e32 v202, 0xbeb58ec6, v132
	v_add_f32_e32 v111, v113, v111
	v_add_f32_e32 v113, v176, v134
	v_mul_f32_e32 v188, 0x3f116cb1, v74
	v_add_f32_e32 v158, v159, v158
	v_mov_b32_e32 v159, v202
	v_add_f32_e32 v111, v113, v111
	v_add_f32_e32 v113, v182, v141
	v_mul_f32_e32 v163, 0xbf52af12, v1
	v_mul_f32_e32 v194, 0xbf3f9e67, v78
	v_fmac_f32_e32 v159, 0x3f6f5d39, v75
	v_mul_f32_e32 v203, 0x3df6dbef, v138
	v_add_f32_e32 v111, v113, v111
	v_add_f32_e32 v113, v188, v147
	v_mul_f32_e32 v169, 0xbf6f5d39, v3
	v_add_f32_e32 v158, v159, v158
	v_mov_b32_e32 v159, v203
	v_add_f32_e32 v111, v113, v111
	v_add_f32_e32 v113, v194, v152
	v_sub_f32_e32 v86, v86, v163
	v_mul_f32_e32 v175, 0xbe750f2a, v12
	v_fmac_f32_e32 v159, 0xbf7e222b, v80
	v_mul_f32_e32 v204, 0xbe750f2a, v79
	v_add_f32_e32 v136, v113, v111
	v_add_f32_e32 v86, v61, v86
	v_sub_f32_e32 v111, v112, v169
	v_mul_f32_e32 v181, 0x3f29c268, v67
	v_add_f32_e32 v159, v159, v158
	v_mov_b32_e32 v158, v204
	v_mul_f32_e32 v205, 0x3eedf032, v82
	v_add_f32_e32 v86, v111, v86
	v_sub_f32_e32 v111, v122, v175
	v_add_f32_e32 v65, v65, v61
	v_mul_f32_e32 v187, 0x3f7e222b, v75
	v_fmac_f32_e32 v158, 0xbf788fa5, v0
	v_mov_b32_e32 v160, v205
	v_add_f32_e32 v86, v111, v86
	v_sub_f32_e32 v111, v135, v181
	v_add_f32_e32 v65, v76, v65
	v_mul_f32_e32 v162, 0x3f116cb1, v0
	v_mul_f32_e32 v193, 0x3eedf032, v80
	v_add_f32_e32 v158, v60, v158
	v_fmac_f32_e32 v160, 0x3f62ad3f, v2
	v_mul_f32_e32 v206, 0xbf29c268, v85
	v_add_f32_e32 v86, v111, v86
	v_sub_f32_e32 v111, v142, v187
	v_add_f32_e32 v65, v77, v65
	v_mul_f32_e32 v168, 0xbeb58ec6, v2
	v_add_f32_e32 v158, v160, v158
	v_mov_b32_e32 v160, v206
	v_add_f32_e32 v86, v111, v86
	v_sub_f32_e32 v111, v148, v193
	v_add_f32_e32 v83, v162, v83
	v_add_f32_e32 v10, v10, v65
	v_mul_f32_e32 v174, 0xbf788fa5, v5
	v_fmac_f32_e32 v160, 0xbf3f9e67, v5
	v_mul_f32_e32 v207, 0x3f52af12, v110
	v_add_f32_e32 v112, v111, v86
	v_add_f32_e32 v83, v60, v83
	;; [unrolled: 1-line block ×5, first 2 shown]
	v_mul_f32_e32 v180, 0xbf3f9e67, v14
	v_add_f32_e32 v158, v160, v158
	v_mov_b32_e32 v160, v207
	v_add_f32_e32 v83, v86, v83
	v_add_f32_e32 v86, v174, v114
	;; [unrolled: 1-line block ×3, first 2 shown]
	v_mul_f32_e32 v186, 0x3df6dbef, v74
	v_fmac_f32_e32 v160, 0x3f116cb1, v14
	v_mul_f32_e32 v208, 0xbf6f5d39, v115
	v_add_f32_e32 v83, v86, v83
	v_add_f32_e32 v86, v180, v131
	;; [unrolled: 1-line block ×3, first 2 shown]
	v_mul_f32_e32 v192, 0x3f62ad3f, v78
	v_add_f32_e32 v158, v160, v158
	v_mov_b32_e32 v160, v208
	v_add_f32_e32 v83, v86, v83
	v_add_f32_e32 v86, v186, v139
	;; [unrolled: 1-line block ×3, first 2 shown]
	v_fmac_f32_e32 v160, 0xbeb58ec6, v74
	v_mul_f32_e32 v209, 0x3f7e222b, v130
	v_mul_f32_e32 v210, 0xbf3f9e67, v81
	v_add_f32_e32 v83, v86, v83
	v_add_f32_e32 v86, v192, v145
	v_mul_f32_e32 v81, 0x3f62ad3f, v81
	v_add_f32_e32 v8, v9, v8
	v_add_f32_e32 v158, v160, v158
	v_mov_b32_e32 v160, v209
	v_mul_f32_e32 v211, 0x3df6dbef, v84
	v_add_f32_e32 v111, v86, v83
	v_mov_b32_e32 v83, v81
	v_mul_f32_e32 v84, 0x3f116cb1, v84
	v_add_f32_e32 v4, v4, v8
	v_fmac_f32_e32 v160, 0x3df6dbef, v78
	v_fmac_f32_e32 v83, 0x3eedf032, v1
	v_mov_b32_e32 v86, v84
	v_add_f32_e32 v4, v6, v4
	v_add_f32_e32 v158, v160, v158
	v_mov_b32_e32 v160, v210
	v_add_f32_e32 v83, v61, v83
	v_fmac_f32_e32 v86, 0x3f52af12, v3
	v_add_f32_e32 v4, v7, v4
	v_fmac_f32_e32 v160, 0x3f29c268, v1
	v_mov_b32_e32 v161, v211
	v_add_f32_e32 v83, v86, v83
	v_mul_f32_e32 v86, 0x3df6dbef, v88
	v_add_f32_e32 v4, v68, v4
	v_add_f32_e32 v160, v61, v160
	v_fmac_f32_e32 v161, 0xbf7e222b, v3
	v_mul_f32_e32 v212, 0x3f116cb1, v88
	v_mov_b32_e32 v87, v86
	v_add_f32_e32 v4, v70, v4
	v_add_f32_e32 v160, v161, v160
	v_mov_b32_e32 v161, v212
	v_fmac_f32_e32 v87, 0x3f7e222b, v12
	v_add_f32_e32 v4, v22, v4
	v_fmac_f32_e32 v198, 0xbe750f2a, v1
	v_fmac_f32_e32 v161, 0x3f52af12, v12
	v_mul_f32_e32 v213, 0xbf788fa5, v120
	v_add_f32_e32 v83, v87, v83
	v_mul_f32_e32 v87, 0xbeb58ec6, v120
	v_add_f32_e32 v9, v13, v4
	v_add_f32_e32 v4, v61, v198
	v_fmac_f32_e32 v199, 0x3eedf032, v3
	v_add_f32_e32 v160, v161, v160
	v_mov_b32_e32 v161, v213
	v_mov_b32_e32 v88, v87
	v_add_f32_e32 v4, v199, v4
	v_fmac_f32_e32 v200, 0xbf29c268, v12
	v_fmac_f32_e32 v161, 0xbe750f2a, v67
	v_mul_f32_e32 v214, 0x3f62ad3f, v132
	v_fmac_f32_e32 v88, 0x3f6f5d39, v67
	v_add_f32_e32 v4, v200, v4
	v_fmac_f32_e32 v201, 0x3f52af12, v67
	v_add_f32_e32 v160, v161, v160
	v_mov_b32_e32 v161, v214
	v_add_f32_e32 v83, v88, v83
	v_mul_f32_e32 v88, 0xbf3f9e67, v132
	v_add_f32_e32 v4, v201, v4
	v_fmac_f32_e32 v202, 0xbf6f5d39, v75
	v_fmac_f32_e32 v161, 0xbeedf032, v75
	v_mul_f32_e32 v215, 0xbeb58ec6, v138
	v_mov_b32_e32 v113, v88
	v_add_f32_e32 v4, v202, v4
	v_fmac_f32_e32 v203, 0x3f7e222b, v80
	v_add_f32_e32 v160, v161, v160
	v_mov_b32_e32 v161, v215
	v_fmac_f32_e32 v113, 0x3f29c268, v75
	v_add_f32_e32 v7, v203, v4
	v_fma_f32 v4, v0, s15, -v204
	v_fmac_f32_e32 v161, 0x3f6f5d39, v80
	v_mul_f32_e32 v216, 0xbf29c268, v79
	v_add_f32_e32 v83, v113, v83
	v_mul_f32_e32 v113, 0xbf788fa5, v138
	v_add_f32_e32 v4, v60, v4
	v_fma_f32 v6, v2, s17, -v205
	v_add_f32_e32 v161, v161, v160
	v_mov_b32_e32 v160, v216
	v_mul_f32_e32 v217, 0x3f7e222b, v82
	v_mov_b32_e32 v114, v113
	v_add_f32_e32 v4, v6, v4
	v_fma_f32 v6, v5, s16, -v206
	v_fmac_f32_e32 v160, 0xbf3f9e67, v0
	v_mov_b32_e32 v218, v217
	v_fmac_f32_e32 v114, 0x3e750f2a, v80
	v_mul_f32_e32 v79, 0xbeedf032, v79
	v_add_f32_e32 v4, v6, v4
	v_fma_f32 v6, v14, s6, -v207
	v_add_f32_e32 v160, v60, v160
	v_fmac_f32_e32 v218, 0x3df6dbef, v2
	v_add_f32_e32 v83, v114, v83
	v_mov_b32_e32 v114, v79
	v_mul_f32_e32 v120, 0xbf52af12, v82
	v_add_f32_e32 v4, v6, v4
	v_fma_f32 v6, v74, s14, -v208
	v_add_f32_e32 v160, v218, v160
	v_mul_f32_e32 v218, 0xbf52af12, v85
	v_fmac_f32_e32 v114, 0x3f62ad3f, v0
	v_mov_b32_e32 v82, v120
	v_add_f32_e32 v4, v6, v4
	v_fma_f32 v6, v78, s7, -v209
	v_fmac_f32_e32 v210, 0xbf29c268, v1
	v_mov_b32_e32 v219, v218
	v_add_f32_e32 v114, v60, v114
	v_fmac_f32_e32 v82, 0x3f116cb1, v2
	v_mul_f32_e32 v85, 0xbf7e222b, v85
	v_add_f32_e32 v6, v6, v4
	v_add_f32_e32 v4, v61, v210
	v_fmac_f32_e32 v211, 0x3f7e222b, v3
	v_fmac_f32_e32 v219, 0x3f116cb1, v5
	v_add_f32_e32 v82, v82, v114
	v_mov_b32_e32 v114, v85
	v_add_f32_e32 v10, v69, v10
	v_add_f32_e32 v4, v211, v4
	v_fmac_f32_e32 v212, 0xbf52af12, v12
	v_add_f32_e32 v160, v219, v160
	v_mul_f32_e32 v219, 0x3e750f2a, v110
	v_fmac_f32_e32 v114, 0x3df6dbef, v5
	v_mul_f32_e32 v110, 0xbf6f5d39, v110
	v_add_f32_e32 v10, v71, v10
	v_add_f32_e32 v4, v212, v4
	v_fmac_f32_e32 v213, 0x3e750f2a, v67
	v_add_f32_e32 v82, v114, v82
	v_mov_b32_e32 v114, v110
	v_add_f32_e32 v10, v72, v10
	v_add_f32_e32 v4, v213, v4
	v_fmac_f32_e32 v214, 0x3eedf032, v75
	v_mov_b32_e32 v220, v219
	v_fmac_f32_e32 v114, 0xbeb58ec6, v14
	v_add_f32_e32 v10, v73, v10
	v_add_f32_e32 v4, v214, v4
	v_fmac_f32_e32 v215, 0xbf6f5d39, v80
	v_fmac_f32_e32 v220, 0xbf788fa5, v14
	v_add_f32_e32 v82, v114, v82
	v_mul_f32_e32 v114, 0xbf29c268, v115
	v_add_f32_e32 v10, v23, v10
	v_add_f32_e32 v23, v215, v4
	v_fma_f32 v4, v0, s16, -v216
	v_fma_f32 v0, v0, s17, -v79
	v_add_f32_e32 v160, v220, v160
	v_mul_f32_e32 v220, 0x3eedf032, v115
	v_mov_b32_e32 v115, v114
	v_fma_f32 v8, v2, s7, -v217
	v_fmac_f32_e32 v81, 0xbeedf032, v1
	v_add_f32_e32 v0, v60, v0
	v_fma_f32 v2, v2, s6, -v120
	v_mov_b32_e32 v221, v220
	v_fmac_f32_e32 v115, 0xbf3f9e67, v74
	v_add_f32_e32 v4, v60, v4
	v_add_f32_e32 v1, v61, v81
	v_fmac_f32_e32 v84, 0xbf52af12, v3
	v_add_f32_e32 v0, v2, v0
	v_fma_f32 v2, v5, s7, -v85
	v_fmac_f32_e32 v221, 0x3f62ad3f, v74
	v_add_f32_e32 v82, v115, v82
	v_mul_f32_e32 v115, 0xbe750f2a, v130
	v_add_f32_e32 v4, v8, v4
	v_fma_f32 v8, v5, s6, -v218
	v_add_f32_e32 v1, v84, v1
	v_fmac_f32_e32 v86, 0xbf7e222b, v12
	v_add_f32_e32 v0, v2, v0
	v_fma_f32 v2, v14, s14, -v110
	v_add_f32_e32 v160, v221, v160
	v_mul_f32_e32 v221, 0xbf6f5d39, v130
	v_mov_b32_e32 v121, v115
	v_add_f32_e32 v4, v8, v4
	v_fma_f32 v8, v14, s15, -v219
	v_add_f32_e32 v1, v86, v1
	v_fmac_f32_e32 v87, 0xbf6f5d39, v67
	v_add_f32_e32 v0, v2, v0
	v_fma_f32 v2, v74, s16, -v114
	v_mov_b32_e32 v222, v221
	v_fmac_f32_e32 v121, 0xbf788fa5, v78
	v_add_f32_e32 v10, v66, v10
	v_add_f32_e32 v4, v8, v4
	v_fma_f32 v8, v74, s17, -v220
	v_add_f32_e32 v1, v87, v1
	v_fmac_f32_e32 v88, 0xbf29c268, v75
	v_add_f32_e32 v0, v2, v0
	v_fma_f32 v2, v78, s15, -v115
	v_fmac_f32_e32 v222, 0xbeb58ec6, v78
	v_add_f32_e32 v82, v121, v82
	v_add_f32_e32 v10, v15, v10
	;; [unrolled: 1-line block ×3, first 2 shown]
	v_fma_f32 v8, v78, s14, -v221
	v_add_f32_e32 v1, v88, v1
	v_fmac_f32_e32 v113, 0xbe750f2a, v80
	v_add_f32_e32 v0, v2, v0
	v_add_lshl_u32 v2, v119, v118, 3
	v_add_f32_e32 v160, v222, v160
	v_add_f32_e32 v22, v8, v4
	v_add_f32_e32 v1, v113, v1
	ds_write2_b64 v2, v[9:10], v[82:83] offset1:3
	ds_write2_b64 v2, v[111:112], v[136:137] offset0:6 offset1:9
	ds_write2_b64 v2, v[156:157], v[160:161] offset0:12 offset1:15
	;; [unrolled: 1-line block ×5, first 2 shown]
	ds_write_b64 v2, v[0:1] offset:288
.LBB0_25:
	s_or_b64 exec, exec, s[4:5]
	v_add_u32_e32 v8, 0x1800, v116
	s_waitcnt lgkmcnt(0)
	s_barrier
	v_add_u32_e32 v0, 0x600, v116
	ds_read2_b64 v[12:15], v8 offset0:90 offset1:207
	v_add_u32_e32 v8, 0x1000, v116
	ds_read2_b64 v[4:7], v116 offset1:117
	ds_read2_b64 v[0:3], v0 offset0:42 offset1:237
	ds_read2_b64 v[8:11], v8 offset0:34 offset1:151
	ds_read_b64 v[22:23], v116 offset:8736
	s_and_saveexec_b64 s[2:3], s[0:1]
	s_cbranch_execz .LBB0_27
; %bb.26:
	ds_read_b64 v[16:17], v116 offset:2808
	ds_read_b64 v[20:21], v116 offset:6240
	;; [unrolled: 1-line block ×3, first 2 shown]
.LBB0_27:
	s_or_b64 exec, exec, s[2:3]
	s_waitcnt lgkmcnt(2)
	v_mul_f32_e32 v60, v41, v3
	v_fmac_f32_e32 v60, v40, v2
	v_mul_f32_e32 v2, v41, v2
	v_fma_f32 v40, v40, v3, -v2
	v_mul_f32_e32 v41, v43, v13
	v_mul_f32_e32 v2, v43, v12
	v_fmac_f32_e32 v41, v42, v12
	v_fma_f32 v12, v42, v13, -v2
	s_waitcnt lgkmcnt(1)
	v_mul_f32_e32 v13, v37, v9
	v_mul_f32_e32 v2, v37, v8
	v_fmac_f32_e32 v13, v36, v8
	v_fma_f32 v36, v36, v9, -v2
	v_mul_f32_e32 v37, v39, v15
	v_mul_f32_e32 v2, v39, v14
	v_fmac_f32_e32 v37, v38, v14
	v_fma_f32 v14, v38, v15, -v2
	;; [unrolled: 4-line block ×3, first 2 shown]
	s_waitcnt lgkmcnt(0)
	v_mul_f32_e32 v2, v31, v22
	v_add_f32_e32 v3, v60, v41
	v_mul_f32_e32 v29, v31, v23
	v_fma_f32 v23, v30, v23, -v2
	v_add_f32_e32 v2, v4, v60
	v_fma_f32 v4, -0.5, v3, v4
	v_sub_f32_e32 v3, v40, v12
	v_mov_b32_e32 v8, v4
	v_add_f32_e32 v9, v40, v12
	v_fmac_f32_e32 v8, 0xbf5db3d7, v3
	v_fmac_f32_e32 v4, 0x3f5db3d7, v3
	v_add_f32_e32 v3, v5, v40
	v_fma_f32 v5, -0.5, v9, v5
	v_sub_f32_e32 v10, v60, v41
	v_mov_b32_e32 v9, v5
	v_add_f32_e32 v11, v13, v37
	v_fmac_f32_e32 v9, 0x3f5db3d7, v10
	v_fmac_f32_e32 v5, 0xbf5db3d7, v10
	v_add_f32_e32 v10, v6, v13
	v_fma_f32 v6, -0.5, v11, v6
	v_add_f32_e32 v3, v3, v12
	v_sub_f32_e32 v11, v36, v14
	v_mov_b32_e32 v12, v6
	v_fmac_f32_e32 v12, 0xbf5db3d7, v11
	v_fmac_f32_e32 v6, 0x3f5db3d7, v11
	v_add_f32_e32 v11, v7, v36
	v_add_f32_e32 v11, v11, v14
	;; [unrolled: 1-line block ×3, first 2 shown]
	v_fmac_f32_e32 v29, v30, v22
	v_fmac_f32_e32 v7, -0.5, v14
	v_sub_f32_e32 v14, v13, v37
	v_mov_b32_e32 v13, v7
	v_add_f32_e32 v15, v38, v29
	v_fmac_f32_e32 v13, 0x3f5db3d7, v14
	v_fmac_f32_e32 v7, 0xbf5db3d7, v14
	v_add_f32_e32 v14, v0, v38
	v_fma_f32 v0, -0.5, v15, v0
	v_sub_f32_e32 v15, v28, v23
	v_mov_b32_e32 v22, v0
	v_fmac_f32_e32 v22, 0xbf5db3d7, v15
	v_fmac_f32_e32 v0, 0x3f5db3d7, v15
	v_add_f32_e32 v15, v1, v28
	v_add_f32_e32 v15, v15, v23
	;; [unrolled: 1-line block ×3, first 2 shown]
	v_fmac_f32_e32 v1, -0.5, v23
	v_add_f32_e32 v2, v2, v41
	v_sub_f32_e32 v28, v38, v29
	v_mov_b32_e32 v23, v1
	v_add_f32_e32 v10, v10, v37
	v_add_f32_e32 v14, v14, v29
	v_fmac_f32_e32 v23, 0x3f5db3d7, v28
	v_fmac_f32_e32 v1, 0xbf5db3d7, v28
	s_barrier
	ds_write2_b64 v126, v[2:3], v[8:9] offset1:39
	ds_write_b64 v126, v[4:5] offset:624
	ds_write2_b64 v127, v[10:11], v[12:13] offset1:39
	ds_write_b64 v127, v[6:7] offset:624
	;; [unrolled: 2-line block ×3, first 2 shown]
	s_and_saveexec_b64 s[2:3], s[0:1]
	s_cbranch_execz .LBB0_29
; %bb.28:
	v_mul_f32_e32 v0, v25, v20
	v_fma_f32 v2, v24, v21, -v0
	v_mul_f32_e32 v0, v27, v18
	v_fma_f32 v4, v26, v19, -v0
	v_add_f32_e32 v0, v2, v4
	v_mul_f32_e32 v6, v25, v21
	v_mul_f32_e32 v7, v27, v19
	v_fma_f32 v1, -0.5, v0, v17
	v_fmac_f32_e32 v6, v24, v20
	v_fmac_f32_e32 v7, v26, v18
	v_sub_f32_e32 v0, v6, v7
	v_mov_b32_e32 v3, v1
	v_fmac_f32_e32 v3, 0xbf5db3d7, v0
	v_fmac_f32_e32 v1, 0x3f5db3d7, v0
	v_add_f32_e32 v0, v17, v2
	v_add_f32_e32 v5, v0, v4
	v_add_f32_e32 v0, v6, v7
	v_fma_f32 v0, -0.5, v0, v16
	v_sub_f32_e32 v4, v2, v4
	v_mov_b32_e32 v2, v0
	s_movk_i32 s4, 0x75
	v_fmac_f32_e32 v2, 0x3f5db3d7, v4
	v_fmac_f32_e32 v0, 0xbf5db3d7, v4
	v_add_f32_e32 v4, v16, v6
	v_mad_legacy_u16 v6, v124, s4, v125
	v_add_f32_e32 v4, v4, v7
	v_lshlrev_b32_e32 v6, 3, v6
	ds_write2_b64 v6, v[4:5], v[0:1] offset1:39
	ds_write_b64 v6, v[2:3] offset:624
.LBB0_29:
	s_or_b64 exec, exec, s[2:3]
	s_waitcnt lgkmcnt(0)
	s_barrier
	ds_read2_b64 v[0:3], v116 offset1:117
	v_add_u32_e32 v22, 0x400, v116
	ds_read2_b64 v[4:7], v22 offset0:106 offset1:223
	v_add_u32_e32 v23, 0xc00, v116
	ds_read2_b64 v[8:11], v23 offset0:84 offset1:201
	v_add_u32_e32 v24, 0x1400, v116
	s_waitcnt lgkmcnt(2)
	v_mul_f32_e32 v26, v53, v3
	ds_read2_b64 v[12:15], v24 offset0:62 offset1:179
	v_fmac_f32_e32 v26, v52, v2
	v_mul_f32_e32 v2, v53, v2
	v_fma_f32 v27, v52, v3, -v2
	s_waitcnt lgkmcnt(2)
	v_mul_f32_e32 v28, v55, v5
	v_mul_f32_e32 v2, v55, v4
	v_add_u32_e32 v25, 0x1c00, v116
	v_fmac_f32_e32 v28, v54, v4
	v_fma_f32 v4, v54, v5, -v2
	v_mul_f32_e32 v5, v49, v7
	v_mul_f32_e32 v2, v49, v6
	ds_read2_b64 v[16:19], v25 offset0:40 offset1:157
	ds_read_b64 v[20:21], v116 offset:9360
	v_fmac_f32_e32 v5, v48, v6
	v_fma_f32 v6, v48, v7, -v2
	s_waitcnt lgkmcnt(3)
	v_mul_f32_e32 v7, v51, v9
	v_mul_f32_e32 v2, v51, v8
	v_fmac_f32_e32 v7, v50, v8
	v_fma_f32 v8, v50, v9, -v2
	v_mul_f32_e32 v9, v45, v11
	v_mul_f32_e32 v2, v45, v10
	v_fmac_f32_e32 v9, v44, v10
	v_fma_f32 v10, v44, v11, -v2
	s_waitcnt lgkmcnt(2)
	v_mul_f32_e32 v11, v47, v13
	v_mul_f32_e32 v2, v47, v12
	v_fmac_f32_e32 v11, v46, v12
	v_fma_f32 v12, v46, v13, -v2
	v_mul_f32_e32 v13, v33, v15
	v_mul_f32_e32 v2, v33, v14
	;; [unrolled: 9-line block ×3, first 2 shown]
	v_fmac_f32_e32 v17, v56, v18
	v_fma_f32 v18, v56, v19, -v2
	s_waitcnt lgkmcnt(0)
	v_mul_f32_e32 v19, v59, v21
	v_mul_f32_e32 v2, v59, v20
	v_add_f32_e32 v3, v1, v27
	v_fmac_f32_e32 v19, v58, v20
	v_fma_f32 v20, v58, v21, -v2
	v_add_f32_e32 v2, v0, v26
	v_add_f32_e32 v3, v3, v4
	;; [unrolled: 1-line block ×19, first 2 shown]
	v_sub_f32_e32 v20, v27, v20
	v_add_f32_e32 v2, v2, v19
	v_add_f32_e32 v21, v26, v19
	v_sub_f32_e32 v19, v26, v19
	v_mul_f32_e32 v26, 0xbf0a6770, v20
	v_mul_f32_e32 v32, 0xbf68dda4, v20
	;; [unrolled: 1-line block ×5, first 2 shown]
	s_mov_b32 s4, 0x3f575c64
	v_mov_b32_e32 v27, v26
	s_mov_b32 s2, 0x3ed4b147
	v_mov_b32_e32 v33, v32
	;; [unrolled: 2-line block ×5, first 2 shown]
	v_fmac_f32_e32 v27, 0x3f575c64, v21
	v_fma_f32 v26, v21, s4, -v26
	v_fmac_f32_e32 v33, 0x3ed4b147, v21
	v_fma_f32 v32, v21, s2, -v32
	;; [unrolled: 2-line block ×5, first 2 shown]
	v_add_f32_e32 v27, v0, v27
	v_mul_f32_e32 v30, 0x3f575c64, v29
	v_add_f32_e32 v26, v0, v26
	v_add_f32_e32 v33, v0, v33
	v_mul_f32_e32 v34, 0x3ed4b147, v29
	v_add_f32_e32 v32, v0, v32
	;; [unrolled: 3-line block ×5, first 2 shown]
	v_add_f32_e32 v20, v4, v18
	v_sub_f32_e32 v4, v4, v18
	v_mov_b32_e32 v31, v30
	v_mov_b32_e32 v35, v34
	;; [unrolled: 1-line block ×5, first 2 shown]
	v_mul_f32_e32 v18, 0xbf68dda4, v4
	v_fmac_f32_e32 v31, 0x3f0a6770, v19
	v_fmac_f32_e32 v30, 0xbf0a6770, v19
	;; [unrolled: 1-line block ×10, first 2 shown]
	v_add_f32_e32 v19, v28, v17
	v_mov_b32_e32 v21, v18
	v_fmac_f32_e32 v21, 0x3ed4b147, v19
	v_sub_f32_e32 v17, v28, v17
	v_add_f32_e32 v21, v21, v27
	v_mul_f32_e32 v27, 0x3ed4b147, v20
	v_add_f32_e32 v30, v1, v30
	v_mov_b32_e32 v28, v27
	v_fma_f32 v18, v19, s2, -v18
	v_fmac_f32_e32 v27, 0xbf68dda4, v17
	v_add_f32_e32 v18, v18, v26
	v_add_f32_e32 v26, v27, v30
	v_mul_f32_e32 v27, 0xbf4178ce, v4
	v_add_f32_e32 v31, v1, v31
	v_add_f32_e32 v35, v1, v35
	;; [unrolled: 1-line block ×9, first 2 shown]
	v_mov_b32_e32 v29, v27
	v_fma_f32 v27, v19, s5, -v27
	v_fmac_f32_e32 v28, 0x3f68dda4, v17
	v_fmac_f32_e32 v29, 0xbf27a4f4, v19
	v_mul_f32_e32 v30, 0xbf27a4f4, v20
	v_add_f32_e32 v27, v27, v32
	v_mul_f32_e32 v32, 0x3e903f40, v4
	v_add_f32_e32 v28, v28, v31
	v_add_f32_e32 v29, v29, v33
	v_mov_b32_e32 v31, v30
	v_fmac_f32_e32 v30, 0xbf4178ce, v17
	v_mov_b32_e32 v33, v32
	v_fma_f32 v32, v19, s6, -v32
	v_fmac_f32_e32 v31, 0x3f4178ce, v17
	v_add_f32_e32 v30, v30, v34
	v_fmac_f32_e32 v33, 0xbf75a155, v19
	v_mul_f32_e32 v34, 0xbf75a155, v20
	v_add_f32_e32 v32, v32, v36
	v_mul_f32_e32 v36, 0x3f7d64f0, v4
	v_add_f32_e32 v31, v31, v35
	v_add_f32_e32 v33, v33, v37
	v_mov_b32_e32 v35, v34
	v_fmac_f32_e32 v34, 0x3e903f40, v17
	v_mov_b32_e32 v37, v36
	v_fmac_f32_e32 v35, 0xbe903f40, v17
	v_add_f32_e32 v34, v34, v38
	v_fmac_f32_e32 v37, 0xbe11bafb, v19
	v_mul_f32_e32 v38, 0xbe11bafb, v20
	v_mul_f32_e32 v20, 0x3f575c64, v20
	v_add_f32_e32 v35, v35, v39
	v_add_f32_e32 v37, v37, v41
	v_mov_b32_e32 v39, v38
	v_fma_f32 v36, v19, s3, -v36
	v_mul_f32_e32 v4, 0x3f0a6770, v4
	v_mov_b32_e32 v41, v20
	v_fmac_f32_e32 v39, 0xbf7d64f0, v17
	v_add_f32_e32 v36, v36, v40
	v_fmac_f32_e32 v38, 0x3f7d64f0, v17
	v_mov_b32_e32 v40, v4
	v_fmac_f32_e32 v41, 0xbf0a6770, v17
	v_fma_f32 v4, v19, s4, -v4
	v_fmac_f32_e32 v20, 0x3f0a6770, v17
	v_add_f32_e32 v17, v6, v16
	v_sub_f32_e32 v6, v6, v16
	v_fmac_f32_e32 v40, 0x3f575c64, v19
	v_add_f32_e32 v0, v4, v0
	v_add_f32_e32 v4, v5, v15
	v_sub_f32_e32 v5, v5, v15
	v_mul_f32_e32 v15, 0xbf7d64f0, v6
	v_mul_f32_e32 v19, 0xbe11bafb, v17
	v_add_f32_e32 v1, v20, v1
	v_mov_b32_e32 v16, v15
	v_mov_b32_e32 v20, v19
	v_fma_f32 v15, v4, s3, -v15
	v_fmac_f32_e32 v19, 0xbf7d64f0, v5
	v_fmac_f32_e32 v16, 0xbe11bafb, v4
	v_add_f32_e32 v15, v15, v18
	v_add_f32_e32 v18, v19, v26
	v_mul_f32_e32 v19, 0x3e903f40, v6
	v_add_f32_e32 v16, v16, v21
	v_mov_b32_e32 v21, v19
	v_fma_f32 v19, v4, s6, -v19
	v_fmac_f32_e32 v21, 0xbf75a155, v4
	v_add_f32_e32 v19, v19, v27
	v_mul_f32_e32 v27, 0x3f68dda4, v6
	v_fmac_f32_e32 v20, 0x3f7d64f0, v5
	v_add_f32_e32 v21, v21, v29
	v_mul_f32_e32 v26, 0xbf75a155, v17
	v_mov_b32_e32 v29, v27
	v_fma_f32 v27, v4, s2, -v27
	v_add_f32_e32 v20, v20, v28
	v_mov_b32_e32 v28, v26
	v_fmac_f32_e32 v26, 0x3e903f40, v5
	v_fmac_f32_e32 v29, 0x3ed4b147, v4
	v_add_f32_e32 v27, v27, v32
	v_mul_f32_e32 v32, 0xbf0a6770, v6
	v_fmac_f32_e32 v28, 0xbe903f40, v5
	v_add_f32_e32 v26, v26, v30
	v_add_f32_e32 v29, v29, v33
	v_mul_f32_e32 v30, 0x3ed4b147, v17
	v_mov_b32_e32 v33, v32
	v_fma_f32 v32, v4, s4, -v32
	v_mul_f32_e32 v6, 0xbf4178ce, v6
	v_add_f32_e32 v28, v28, v31
	v_mov_b32_e32 v31, v30
	v_fmac_f32_e32 v30, 0x3f68dda4, v5
	v_add_f32_e32 v32, v32, v36
	v_mov_b32_e32 v36, v6
	v_fmac_f32_e32 v31, 0xbf68dda4, v5
	v_add_f32_e32 v30, v30, v34
	v_fmac_f32_e32 v33, 0x3f575c64, v4
	v_mul_f32_e32 v34, 0x3f575c64, v17
	v_fmac_f32_e32 v36, 0xbf27a4f4, v4
	v_mul_f32_e32 v17, 0xbf27a4f4, v17
	v_fma_f32 v4, v4, s5, -v6
	v_add_f32_e32 v31, v31, v35
	v_add_f32_e32 v33, v33, v37
	v_mov_b32_e32 v35, v34
	v_mov_b32_e32 v37, v17
	v_add_f32_e32 v0, v4, v0
	v_add_f32_e32 v4, v7, v13
	v_sub_f32_e32 v6, v7, v13
	v_sub_f32_e32 v7, v8, v14
	v_fmac_f32_e32 v35, 0x3f0a6770, v5
	v_fmac_f32_e32 v34, 0xbf0a6770, v5
	;; [unrolled: 1-line block ×4, first 2 shown]
	v_add_f32_e32 v5, v8, v14
	v_mul_f32_e32 v8, 0xbf4178ce, v7
	v_mov_b32_e32 v13, v8
	v_fma_f32 v8, v4, s5, -v8
	v_fmac_f32_e32 v13, 0xbf27a4f4, v4
	v_mul_f32_e32 v14, 0xbf27a4f4, v5
	v_add_f32_e32 v8, v8, v15
	v_mul_f32_e32 v15, 0x3f7d64f0, v7
	v_add_f32_e32 v1, v17, v1
	v_add_f32_e32 v13, v13, v16
	v_mov_b32_e32 v16, v14
	v_fmac_f32_e32 v14, 0xbf4178ce, v6
	v_mov_b32_e32 v17, v15
	v_fma_f32 v15, v4, s3, -v15
	v_fmac_f32_e32 v16, 0x3f4178ce, v6
	v_add_f32_e32 v14, v14, v18
	v_fmac_f32_e32 v17, 0xbe11bafb, v4
	v_mul_f32_e32 v18, 0xbe11bafb, v5
	v_add_f32_e32 v15, v15, v19
	v_mul_f32_e32 v19, 0xbf0a6770, v7
	v_add_f32_e32 v16, v16, v20
	v_add_f32_e32 v17, v17, v21
	v_mov_b32_e32 v20, v18
	v_fmac_f32_e32 v18, 0x3f7d64f0, v6
	v_mov_b32_e32 v21, v19
	v_fma_f32 v19, v4, s4, -v19
	v_fmac_f32_e32 v20, 0xbf7d64f0, v6
	v_add_f32_e32 v18, v18, v26
	v_fmac_f32_e32 v21, 0x3f575c64, v4
	v_mul_f32_e32 v26, 0x3f575c64, v5
	v_add_f32_e32 v19, v19, v27
	v_mul_f32_e32 v27, 0xbe903f40, v7
	v_add_f32_e32 v20, v20, v28
	v_add_f32_e32 v21, v21, v29
	v_mov_b32_e32 v28, v26
	v_fmac_f32_e32 v26, 0xbf0a6770, v6
	v_mov_b32_e32 v29, v27
	v_fma_f32 v27, v4, s6, -v27
	v_mul_f32_e32 v7, 0x3f68dda4, v7
	v_add_f32_e32 v39, v39, v43
	v_add_f32_e32 v38, v38, v42
	;; [unrolled: 1-line block ×3, first 2 shown]
	v_fmac_f32_e32 v28, 0x3f0a6770, v6
	v_add_f32_e32 v26, v26, v30
	v_fmac_f32_e32 v29, 0xbf75a155, v4
	v_mul_f32_e32 v30, 0xbf75a155, v5
	v_add_f32_e32 v27, v27, v32
	v_mov_b32_e32 v32, v7
	v_mul_f32_e32 v5, 0x3ed4b147, v5
	v_add_f32_e32 v41, v41, v45
	v_add_f32_e32 v35, v35, v39
	;; [unrolled: 1-line block ×6, first 2 shown]
	v_mov_b32_e32 v31, v30
	v_fmac_f32_e32 v30, 0xbe903f40, v6
	v_fmac_f32_e32 v32, 0x3ed4b147, v4
	v_mov_b32_e32 v33, v5
	v_fma_f32 v4, v4, s2, -v7
	v_sub_f32_e32 v39, v10, v12
	v_add_f32_e32 v37, v37, v41
	v_add_f32_e32 v30, v30, v34
	;; [unrolled: 1-line block ×3, first 2 shown]
	v_fmac_f32_e32 v33, 0xbf68dda4, v6
	v_add_f32_e32 v34, v4, v0
	v_add_f32_e32 v36, v9, v11
	v_mul_f32_e32 v4, 0xbe903f40, v39
	v_fmac_f32_e32 v31, 0x3e903f40, v6
	v_add_f32_e32 v33, v33, v37
	v_fmac_f32_e32 v5, 0x3f68dda4, v6
	v_add_f32_e32 v37, v10, v12
	v_mov_b32_e32 v0, v4
	v_fma_f32 v4, v36, s6, -v4
	v_add_f32_e32 v31, v31, v35
	v_add_f32_e32 v35, v5, v1
	v_sub_f32_e32 v38, v9, v11
	v_mul_f32_e32 v5, 0xbf75a155, v37
	v_add_f32_e32 v4, v4, v8
	v_mul_f32_e32 v8, 0x3f0a6770, v39
	v_mul_f32_e32 v9, 0x3f575c64, v37
	;; [unrolled: 1-line block ×3, first 2 shown]
	v_mov_b32_e32 v1, v5
	v_mov_b32_e32 v6, v8
	;; [unrolled: 1-line block ×4, first 2 shown]
	v_fmac_f32_e32 v0, 0xbf75a155, v36
	v_fmac_f32_e32 v1, 0x3e903f40, v38
	;; [unrolled: 1-line block ×5, first 2 shown]
	v_add_f32_e32 v0, v0, v13
	v_add_f32_e32 v1, v1, v16
	v_fmac_f32_e32 v5, 0xbe903f40, v38
	v_add_f32_e32 v6, v6, v17
	v_add_f32_e32 v7, v7, v20
	v_fma_f32 v8, v36, s4, -v8
	v_fmac_f32_e32 v9, 0x3f0a6770, v38
	v_add_f32_e32 v10, v10, v21
	v_mul_f32_e32 v13, 0xbf27a4f4, v37
	v_fma_f32 v12, v36, s5, -v12
	v_mul_f32_e32 v16, 0x3f68dda4, v39
	v_mul_f32_e32 v17, 0x3ed4b147, v37
	;; [unrolled: 1-line block ×4, first 2 shown]
	v_add_f32_e32 v5, v5, v14
	v_add_f32_e32 v8, v8, v15
	;; [unrolled: 1-line block ×3, first 2 shown]
	v_mov_b32_e32 v11, v13
	v_add_f32_e32 v12, v12, v19
	v_mov_b32_e32 v14, v16
	v_mov_b32_e32 v15, v17
	;; [unrolled: 1-line block ×4, first 2 shown]
	v_fmac_f32_e32 v11, 0x3f4178ce, v38
	v_fmac_f32_e32 v13, 0xbf4178ce, v38
	;; [unrolled: 1-line block ×4, first 2 shown]
	v_fma_f32 v16, v36, s2, -v16
	v_fmac_f32_e32 v17, 0x3f68dda4, v38
	v_fmac_f32_e32 v18, 0xbe11bafb, v36
	;; [unrolled: 1-line block ×3, first 2 shown]
	v_fma_f32 v20, v36, s3, -v20
	v_fmac_f32_e32 v21, 0xbf7d64f0, v38
	v_add_f32_e32 v11, v11, v28
	v_add_f32_e32 v13, v13, v26
	;; [unrolled: 1-line block ×10, first 2 shown]
	ds_write2_b64 v116, v[2:3], v[0:1] offset1:117
	ds_write2_b64 v22, v[6:7], v[10:11] offset0:106 offset1:223
	ds_write2_b64 v23, v[14:15], v[18:19] offset0:84 offset1:201
	;; [unrolled: 1-line block ×4, first 2 shown]
	ds_write_b64 v116, v[4:5] offset:9360
	s_waitcnt lgkmcnt(0)
	s_barrier
	ds_read2_b64 v[0:3], v116 offset1:117
	v_mad_u64_u32 v[8:9], s[2:3], s10, v101, 0
	s_mov_b32 s2, 0x768d3a48
	s_mov_b32 s3, 0x3f4975f4
	s_waitcnt lgkmcnt(0)
	v_mul_f32_e32 v4, v109, v1
	v_fmac_f32_e32 v4, v108, v0
	v_cvt_f64_f32_e32 v[4:5], v4
	v_mul_f32_e32 v0, v109, v0
	v_fma_f32 v0, v108, v1, -v0
	v_cvt_f64_f32_e32 v[0:1], v0
	v_mul_f64 v[4:5], v[4:5], s[2:3]
	v_mad_u64_u32 v[10:11], s[4:5], s8, v117, 0
	v_mov_b32_e32 v6, v9
	v_mad_u64_u32 v[6:7], s[4:5], s11, v101, v[6:7]
	v_mul_f64 v[0:1], v[0:1], s[2:3]
	s_mul_hi_u32 s7, s8, 0xfffffd1b
	v_cvt_f32_f64_e32 v12, v[4:5]
	v_mov_b32_e32 v4, v11
	v_mad_u64_u32 v[14:15], s[4:5], s9, v117, v[4:5]
	v_add_u32_e32 v4, 0x600, v116
	v_mov_b32_e32 v9, v6
	ds_read2_b64 v[4:7], v4 offset0:42 offset1:237
	v_cvt_f32_f64_e32 v13, v[0:1]
	v_lshlrev_b64 v[0:1], 3, v[8:9]
	v_mov_b32_e32 v11, v14
	v_mov_b32_e32 v14, s13
	s_waitcnt lgkmcnt(0)
	v_mul_f32_e32 v8, v107, v7
	v_fmac_f32_e32 v8, v106, v6
	v_mul_f32_e32 v6, v107, v6
	v_fma_f32 v6, v106, v7, -v6
	v_cvt_f64_f32_e32 v[8:9], v8
	v_cvt_f64_f32_e32 v[6:7], v6
	v_add_co_u32_e32 v15, vcc, s12, v0
	v_addc_co_u32_e32 v14, vcc, v14, v1, vcc
	v_mul_f64 v[0:1], v[8:9], s[2:3]
	v_mul_f64 v[6:7], v[6:7], s[2:3]
	v_lshlrev_b64 v[8:9], 3, v[10:11]
	s_mul_i32 s4, s9, 0x1ad
	v_add_co_u32_e32 v10, vcc, v15, v8
	v_addc_co_u32_e32 v11, vcc, v14, v9, vcc
	v_cvt_f32_f64_e32 v0, v[0:1]
	v_cvt_f32_f64_e32 v1, v[6:7]
	v_add_u32_e32 v6, 0x1800, v116
	ds_read2_b64 v[6:9], v6 offset0:90 offset1:207
	global_store_dwordx2 v[10:11], v[12:13], off
	v_mul_f32_e32 v14, v105, v3
	v_fmac_f32_e32 v14, v104, v2
	v_mul_f32_e32 v2, v105, v2
	s_waitcnt lgkmcnt(0)
	v_mul_f32_e32 v12, v103, v7
	v_fmac_f32_e32 v12, v102, v6
	v_mul_f32_e32 v6, v103, v6
	v_fma_f32 v6, v102, v7, -v6
	v_cvt_f64_f32_e32 v[12:13], v12
	v_cvt_f64_f32_e32 v[6:7], v6
	v_fma_f32 v2, v104, v3, -v2
	v_cvt_f64_f32_e32 v[2:3], v2
	v_mul_f64 v[12:13], v[12:13], s[2:3]
	v_mul_f64 v[6:7], v[6:7], s[2:3]
	s_mul_hi_u32 s5, s8, 0x1ad
	s_add_i32 s5, s5, s4
	s_mul_i32 s4, s8, 0x1ad
	s_lshl_b64 s[4:5], s[4:5], 3
	v_mul_f64 v[2:3], v[2:3], s[2:3]
	v_mov_b32_e32 v16, s5
	v_add_co_u32_e32 v10, vcc, s4, v10
	v_cvt_f64_f32_e32 v[14:15], v14
	v_addc_co_u32_e32 v11, vcc, v11, v16, vcc
	global_store_dwordx2 v[10:11], v[0:1], off
	v_cvt_f32_f64_e32 v0, v[12:13]
	v_cvt_f32_f64_e32 v1, v[6:7]
	v_mul_f64 v[12:13], v[14:15], s[2:3]
	v_add_co_u32_e32 v6, vcc, s4, v10
	v_addc_co_u32_e32 v7, vcc, v11, v16, vcc
	global_store_dwordx2 v[6:7], v[0:1], off
	v_add_u32_e32 v0, 0x1000, v116
	v_cvt_f32_f64_e32 v11, v[2:3]
	ds_read2_b64 v[0:3], v0 offset0:34 offset1:151
	v_cvt_f32_f64_e32 v10, v[12:13]
	s_mul_i32 s6, s9, 0xfffffd1b
	s_sub_i32 s7, s7, s8
	s_add_i32 s7, s7, s6
	s_waitcnt lgkmcnt(0)
	v_mul_f32_e32 v12, v100, v1
	v_fmac_f32_e32 v12, v99, v0
	v_mul_f32_e32 v0, v100, v0
	v_fma_f32 v0, v99, v1, -v0
	v_cvt_f64_f32_e32 v[0:1], v0
	v_cvt_f64_f32_e32 v[12:13], v12
	s_mul_i32 s6, s8, 0xfffffd1b
	s_lshl_b64 s[6:7], s[6:7], 3
	v_mul_f64 v[0:1], v[0:1], s[2:3]
	v_mul_f64 v[12:13], v[12:13], s[2:3]
	v_mov_b32_e32 v14, s7
	v_add_co_u32_e32 v6, vcc, s6, v6
	v_addc_co_u32_e32 v7, vcc, v7, v14, vcc
	global_store_dwordx2 v[6:7], v[10:11], off
	v_cvt_f32_f64_e32 v11, v[0:1]
	v_mul_f32_e32 v0, v98, v9
	v_fmac_f32_e32 v0, v97, v8
	v_mul_f32_e32 v8, v98, v8
	v_fma_f32 v8, v97, v9, -v8
	v_cvt_f64_f32_e32 v[0:1], v0
	v_cvt_f64_f32_e32 v[8:9], v8
	v_cvt_f32_f64_e32 v10, v[12:13]
	v_mul_f32_e32 v12, v96, v5
	v_fmac_f32_e32 v12, v95, v4
	v_mul_f32_e32 v4, v96, v4
	v_fma_f32 v4, v95, v5, -v4
	v_mul_f64 v[0:1], v[0:1], s[2:3]
	v_mul_f64 v[8:9], v[8:9], s[2:3]
	v_cvt_f64_f32_e32 v[4:5], v4
	v_cvt_f64_f32_e32 v[12:13], v12
	v_add_co_u32_e32 v6, vcc, s4, v6
	v_mul_f64 v[4:5], v[4:5], s[2:3]
	v_addc_co_u32_e32 v7, vcc, v7, v16, vcc
	v_cvt_f32_f64_e32 v0, v[0:1]
	v_cvt_f32_f64_e32 v1, v[8:9]
	global_store_dwordx2 v[6:7], v[10:11], off
	v_add_co_u32_e32 v6, vcc, s4, v6
	v_mul_f64 v[10:11], v[12:13], s[2:3]
	v_addc_co_u32_e32 v7, vcc, v7, v16, vcc
	global_store_dwordx2 v[6:7], v[0:1], off
	v_cvt_f32_f64_e32 v1, v[4:5]
	v_mul_f32_e32 v4, v94, v3
	v_fmac_f32_e32 v4, v93, v2
	v_cvt_f64_f32_e32 v[4:5], v4
	ds_read_b64 v[8:9], v116 offset:8736
	v_mul_f32_e32 v2, v94, v2
	v_cvt_f32_f64_e32 v0, v[10:11]
	v_mul_f64 v[4:5], v[4:5], s[2:3]
	v_fma_f32 v2, v93, v3, -v2
	s_waitcnt lgkmcnt(0)
	v_mul_f32_e32 v10, v92, v9
	v_cvt_f64_f32_e32 v[2:3], v2
	v_fmac_f32_e32 v10, v91, v8
	v_mul_f32_e32 v8, v92, v8
	v_fma_f32 v8, v91, v9, -v8
	v_cvt_f64_f32_e32 v[10:11], v10
	v_cvt_f64_f32_e32 v[8:9], v8
	v_add_co_u32_e32 v6, vcc, s6, v6
	v_mul_f64 v[2:3], v[2:3], s[2:3]
	v_addc_co_u32_e32 v7, vcc, v7, v14, vcc
	global_store_dwordx2 v[6:7], v[0:1], off
	v_cvt_f32_f64_e32 v0, v[4:5]
	v_mul_f64 v[4:5], v[10:11], s[2:3]
	v_mul_f64 v[8:9], v[8:9], s[2:3]
	s_movk_i32 s8, 0x1000
	v_cvt_f32_f64_e32 v1, v[2:3]
	v_add_co_u32_e32 v2, vcc, s4, v6
	v_addc_co_u32_e32 v3, vcc, v7, v16, vcc
	v_cvt_f32_f64_e32 v4, v[4:5]
	v_cvt_f32_f64_e32 v5, v[8:9]
	global_store_dwordx2 v[2:3], v[0:1], off
	v_add_co_u32_e32 v0, vcc, s4, v2
	v_addc_co_u32_e32 v1, vcc, v3, v16, vcc
	global_store_dwordx2 v[0:1], v[4:5], off
	s_and_b64 exec, exec, s[0:1]
	s_cbranch_execz .LBB0_31
; %bb.30:
	v_add_co_u32_e32 v4, vcc, s8, v89
	v_addc_co_u32_e32 v5, vcc, 0, v90, vcc
	s_movk_i32 s0, 0x2000
	global_load_dwordx2 v[2:3], v[89:90], off offset:2808
	v_add_co_u32_e32 v6, vcc, s0, v89
	global_load_dwordx2 v[4:5], v[4:5], off offset:2144
	v_addc_co_u32_e32 v7, vcc, 0, v90, vcc
	global_load_dwordx2 v[6:7], v[6:7], off offset:1480
	ds_read_b64 v[8:9], v116 offset:2808
	ds_read_b64 v[10:11], v116 offset:6240
	;; [unrolled: 1-line block ×3, first 2 shown]
	v_mov_b32_e32 v14, s7
	v_add_co_u32_e32 v0, vcc, s6, v0
	v_addc_co_u32_e32 v1, vcc, v1, v14, vcc
	v_mov_b32_e32 v16, s5
	s_waitcnt vmcnt(2) lgkmcnt(2)
	v_mul_f32_e32 v14, v9, v3
	v_mul_f32_e32 v3, v8, v3
	v_fmac_f32_e32 v14, v8, v2
	v_fma_f32 v8, v2, v9, -v3
	s_waitcnt vmcnt(1) lgkmcnt(1)
	v_mul_f32_e32 v15, v11, v5
	v_mul_f32_e32 v5, v10, v5
	v_cvt_f64_f32_e32 v[2:3], v14
	v_cvt_f64_f32_e32 v[8:9], v8
	v_fmac_f32_e32 v15, v10, v4
	v_fma_f32 v10, v4, v11, -v5
	s_waitcnt vmcnt(0) lgkmcnt(0)
	v_mul_f32_e32 v14, v13, v7
	v_mul_f32_e32 v7, v12, v7
	v_cvt_f64_f32_e32 v[4:5], v15
	v_cvt_f64_f32_e32 v[10:11], v10
	v_fmac_f32_e32 v14, v12, v6
	v_fma_f32 v12, v6, v13, -v7
	v_cvt_f64_f32_e32 v[6:7], v14
	v_cvt_f64_f32_e32 v[12:13], v12
	v_mul_f64 v[2:3], v[2:3], s[2:3]
	v_mul_f64 v[8:9], v[8:9], s[2:3]
	;; [unrolled: 1-line block ×6, first 2 shown]
	v_add_co_u32_e32 v14, vcc, s4, v0
	v_cvt_f32_f64_e32 v2, v[2:3]
	v_cvt_f32_f64_e32 v3, v[8:9]
	;; [unrolled: 1-line block ×6, first 2 shown]
	v_addc_co_u32_e32 v15, vcc, v1, v16, vcc
	global_store_dwordx2 v[0:1], v[2:3], off
	global_store_dwordx2 v[14:15], v[4:5], off
	v_add_co_u32_e32 v0, vcc, s4, v14
	v_addc_co_u32_e32 v1, vcc, v15, v16, vcc
	global_store_dwordx2 v[0:1], v[6:7], off
.LBB0_31:
	s_endpgm
	.section	.rodata,"a",@progbits
	.p2align	6, 0x0
	.amdhsa_kernel bluestein_single_back_len1287_dim1_sp_op_CI_CI
		.amdhsa_group_segment_fixed_size 10296
		.amdhsa_private_segment_fixed_size 0
		.amdhsa_kernarg_size 104
		.amdhsa_user_sgpr_count 6
		.amdhsa_user_sgpr_private_segment_buffer 1
		.amdhsa_user_sgpr_dispatch_ptr 0
		.amdhsa_user_sgpr_queue_ptr 0
		.amdhsa_user_sgpr_kernarg_segment_ptr 1
		.amdhsa_user_sgpr_dispatch_id 0
		.amdhsa_user_sgpr_flat_scratch_init 0
		.amdhsa_user_sgpr_private_segment_size 0
		.amdhsa_uses_dynamic_stack 0
		.amdhsa_system_sgpr_private_segment_wavefront_offset 0
		.amdhsa_system_sgpr_workgroup_id_x 1
		.amdhsa_system_sgpr_workgroup_id_y 0
		.amdhsa_system_sgpr_workgroup_id_z 0
		.amdhsa_system_sgpr_workgroup_info 0
		.amdhsa_system_vgpr_workitem_id 0
		.amdhsa_next_free_vgpr 230
		.amdhsa_next_free_sgpr 23
		.amdhsa_reserve_vcc 1
		.amdhsa_reserve_flat_scratch 0
		.amdhsa_float_round_mode_32 0
		.amdhsa_float_round_mode_16_64 0
		.amdhsa_float_denorm_mode_32 3
		.amdhsa_float_denorm_mode_16_64 3
		.amdhsa_dx10_clamp 1
		.amdhsa_ieee_mode 1
		.amdhsa_fp16_overflow 0
		.amdhsa_exception_fp_ieee_invalid_op 0
		.amdhsa_exception_fp_denorm_src 0
		.amdhsa_exception_fp_ieee_div_zero 0
		.amdhsa_exception_fp_ieee_overflow 0
		.amdhsa_exception_fp_ieee_underflow 0
		.amdhsa_exception_fp_ieee_inexact 0
		.amdhsa_exception_int_div_zero 0
	.end_amdhsa_kernel
	.text
.Lfunc_end0:
	.size	bluestein_single_back_len1287_dim1_sp_op_CI_CI, .Lfunc_end0-bluestein_single_back_len1287_dim1_sp_op_CI_CI
                                        ; -- End function
	.section	.AMDGPU.csdata,"",@progbits
; Kernel info:
; codeLenInByte = 17188
; NumSgprs: 27
; NumVgprs: 230
; ScratchSize: 0
; MemoryBound: 0
; FloatMode: 240
; IeeeMode: 1
; LDSByteSize: 10296 bytes/workgroup (compile time only)
; SGPRBlocks: 3
; VGPRBlocks: 57
; NumSGPRsForWavesPerEU: 27
; NumVGPRsForWavesPerEU: 230
; Occupancy: 1
; WaveLimiterHint : 1
; COMPUTE_PGM_RSRC2:SCRATCH_EN: 0
; COMPUTE_PGM_RSRC2:USER_SGPR: 6
; COMPUTE_PGM_RSRC2:TRAP_HANDLER: 0
; COMPUTE_PGM_RSRC2:TGID_X_EN: 1
; COMPUTE_PGM_RSRC2:TGID_Y_EN: 0
; COMPUTE_PGM_RSRC2:TGID_Z_EN: 0
; COMPUTE_PGM_RSRC2:TIDIG_COMP_CNT: 0
	.type	__hip_cuid_22bf3da18003a3a7,@object ; @__hip_cuid_22bf3da18003a3a7
	.section	.bss,"aw",@nobits
	.globl	__hip_cuid_22bf3da18003a3a7
__hip_cuid_22bf3da18003a3a7:
	.byte	0                               ; 0x0
	.size	__hip_cuid_22bf3da18003a3a7, 1

	.ident	"AMD clang version 19.0.0git (https://github.com/RadeonOpenCompute/llvm-project roc-6.4.0 25133 c7fe45cf4b819c5991fe208aaa96edf142730f1d)"
	.section	".note.GNU-stack","",@progbits
	.addrsig
	.addrsig_sym __hip_cuid_22bf3da18003a3a7
	.amdgpu_metadata
---
amdhsa.kernels:
  - .args:
      - .actual_access:  read_only
        .address_space:  global
        .offset:         0
        .size:           8
        .value_kind:     global_buffer
      - .actual_access:  read_only
        .address_space:  global
        .offset:         8
        .size:           8
        .value_kind:     global_buffer
      - .actual_access:  read_only
        .address_space:  global
        .offset:         16
        .size:           8
        .value_kind:     global_buffer
      - .actual_access:  read_only
        .address_space:  global
        .offset:         24
        .size:           8
        .value_kind:     global_buffer
      - .actual_access:  read_only
        .address_space:  global
        .offset:         32
        .size:           8
        .value_kind:     global_buffer
      - .offset:         40
        .size:           8
        .value_kind:     by_value
      - .address_space:  global
        .offset:         48
        .size:           8
        .value_kind:     global_buffer
      - .address_space:  global
        .offset:         56
        .size:           8
        .value_kind:     global_buffer
      - .address_space:  global
        .offset:         64
        .size:           8
        .value_kind:     global_buffer
      - .address_space:  global
        .offset:         72
        .size:           8
        .value_kind:     global_buffer
      - .offset:         80
        .size:           4
        .value_kind:     by_value
      - .address_space:  global
        .offset:         88
        .size:           8
        .value_kind:     global_buffer
      - .address_space:  global
        .offset:         96
        .size:           8
        .value_kind:     global_buffer
    .group_segment_fixed_size: 10296
    .kernarg_segment_align: 8
    .kernarg_segment_size: 104
    .language:       OpenCL C
    .language_version:
      - 2
      - 0
    .max_flat_workgroup_size: 117
    .name:           bluestein_single_back_len1287_dim1_sp_op_CI_CI
    .private_segment_fixed_size: 0
    .sgpr_count:     27
    .sgpr_spill_count: 0
    .symbol:         bluestein_single_back_len1287_dim1_sp_op_CI_CI.kd
    .uniform_work_group_size: 1
    .uses_dynamic_stack: false
    .vgpr_count:     230
    .vgpr_spill_count: 0
    .wavefront_size: 64
amdhsa.target:   amdgcn-amd-amdhsa--gfx906
amdhsa.version:
  - 1
  - 2
...

	.end_amdgpu_metadata
